;; amdgpu-corpus repo=ROCm/rocFFT kind=compiled arch=gfx906 opt=O3
	.text
	.amdgcn_target "amdgcn-amd-amdhsa--gfx906"
	.amdhsa_code_object_version 6
	.protected	bluestein_single_back_len3750_dim1_half_op_CI_CI ; -- Begin function bluestein_single_back_len3750_dim1_half_op_CI_CI
	.globl	bluestein_single_back_len3750_dim1_half_op_CI_CI
	.p2align	8
	.type	bluestein_single_back_len3750_dim1_half_op_CI_CI,@function
bluestein_single_back_len3750_dim1_half_op_CI_CI: ; @bluestein_single_back_len3750_dim1_half_op_CI_CI
; %bb.0:
	s_load_dwordx4 s[16:19], s[4:5], 0x28
	v_mul_u32_u24_e32 v1, 0x20d, v0
	v_add_u32_sdwa v96, s6, v1 dst_sel:DWORD dst_unused:UNUSED_PAD src0_sel:DWORD src1_sel:WORD_1
	v_mov_b32_e32 v97, 0
	s_waitcnt lgkmcnt(0)
	v_cmp_gt_u64_e32 vcc, s[16:17], v[96:97]
	s_and_saveexec_b64 s[0:1], vcc
	s_cbranch_execz .LBB0_2
; %bb.1:
	s_load_dwordx4 s[8:11], s[4:5], 0x18
	s_load_dwordx4 s[0:3], s[4:5], 0x0
	s_movk_i32 s6, 0x7d
	v_mul_lo_u16_sdwa v1, v1, s6 dst_sel:DWORD dst_unused:UNUSED_PAD src0_sel:WORD_1 src1_sel:DWORD
	v_sub_u16_e32 v137, v0, v1
	s_waitcnt lgkmcnt(0)
	s_load_dwordx4 s[12:15], s[8:9], 0x0
	v_lshlrev_b32_e32 v142, 2, v137
	global_load_dword v140, v142, s[0:1]
	v_add_u32_e32 v162, 0x1400, v142
	v_add_u32_e32 v149, 0x2800, v142
	s_waitcnt lgkmcnt(0)
	v_mad_u64_u32 v[0:1], s[8:9], s14, v96, 0
	v_mad_u64_u32 v[2:3], s[8:9], s12, v137, 0
	s_mul_i32 s7, s13, 0x1388
	s_mul_i32 s14, s12, 0x1388
	v_mad_u64_u32 v[4:5], s[8:9], s15, v96, v[1:2]
	s_movk_i32 s15, 0x3000
	v_add_u32_e32 v138, 0x200, v142
	v_mad_u64_u32 v[5:6], s[8:9], s13, v137, v[3:4]
	v_mov_b32_e32 v1, v4
	v_lshlrev_b64 v[0:1], 2, v[0:1]
	v_mov_b32_e32 v6, s19
	v_mov_b32_e32 v3, v5
	v_add_co_u32_e32 v4, vcc, s18, v0
	v_addc_co_u32_e32 v5, vcc, v6, v1, vcc
	v_lshlrev_b64 v[0:1], 2, v[2:3]
	v_mov_b32_e32 v2, s1
	v_add_co_u32_e32 v0, vcc, v4, v0
	v_addc_co_u32_e32 v1, vcc, v5, v1, vcc
	v_add_co_u32_e32 v147, vcc, s0, v142
	s_mul_hi_u32 s8, s12, 0x1388
	v_addc_co_u32_e32 v148, vcc, 0, v2, vcc
	s_add_i32 s7, s8, s7
	global_load_dword v6, v[0:1], off
	v_mov_b32_e32 v2, s7
	v_add_co_u32_e32 v0, vcc, s14, v0
	v_addc_co_u32_e32 v1, vcc, v1, v2, vcc
	s_movk_i32 s8, 0x1000
	v_add_co_u32_e32 v2, vcc, s8, v147
	global_load_dword v7, v[0:1], off
	v_addc_co_u32_e32 v3, vcc, 0, v148, vcc
	global_load_dword v136, v[2:3], off offset:904
	v_mov_b32_e32 v4, s7
	v_add_co_u32_e32 v0, vcc, s14, v0
	v_addc_co_u32_e32 v1, vcc, v1, v4, vcc
	s_movk_i32 s8, 0x2000
	v_add_co_u32_e32 v4, vcc, s8, v147
	global_load_dword v8, v[0:1], off
	v_addc_co_u32_e32 v5, vcc, 0, v148, vcc
	global_load_dword v134, v[4:5], off offset:1808
	s_mul_hi_u32 s9, s12, 0xffffdae4
	s_mul_i32 s8, s13, 0xffffdae4
	s_sub_i32 s13, s9, s12
	s_add_i32 s13, s13, s8
	s_mulk_i32 s12, 0xdae4
	v_mov_b32_e32 v9, s13
	v_add_co_u32_e32 v0, vcc, s12, v0
	v_addc_co_u32_e32 v1, vcc, v1, v9, vcc
	global_load_dword v9, v[0:1], off
	global_load_dword v133, v142, s[0:1] offset:500
	v_mov_b32_e32 v10, s7
	v_add_co_u32_e32 v0, vcc, s14, v0
	v_addc_co_u32_e32 v1, vcc, v1, v10, vcc
	global_load_dword v10, v[0:1], off
	global_load_dword v132, v[2:3], off offset:1404
	s_load_dwordx4 s[8:11], s[10:11], 0x0
	global_load_dword v129, v142, s[0:1] offset:1000
	global_load_dword v123, v142, s[0:1] offset:1500
	;; [unrolled: 1-line block ×6, first 2 shown]
	global_load_dword v130, v[2:3], off offset:1904
	global_load_dword v124, v[2:3], off offset:2404
	;; [unrolled: 1-line block ×6, first 2 shown]
	v_mov_b32_e32 v2, s7
	v_add_co_u32_e32 v0, vcc, s14, v0
	v_addc_co_u32_e32 v1, vcc, v1, v2, vcc
	global_load_dword v2, v[0:1], off
	global_load_dword v135, v[4:5], off offset:2308
	v_add_co_u32_e32 v0, vcc, s12, v0
	v_mov_b32_e32 v13, s7
	v_mov_b32_e32 v15, s13
	v_add_u32_e32 v144, 0x1800, v142
	v_add_u32_e32 v150, 0x2c00, v142
	v_add_u32_e32 v127, 0x600, v142
	v_add_u32_e32 v153, 0x1c00, v142
	v_add_u32_e32 v146, 0x3000, v142
	v_add_u32_e32 v119, 0xa00, v142
	v_add_u32_e32 v154, 0x2000, v142
	v_add_u32_e32 v152, 0x3400, v142
	v_add_u32_e32 v110, 0xe00, v142
	v_add_u32_e32 v143, 0x2600, v142
	v_add_u32_e32 v145, 0x1200, v142
	v_add_u32_e32 v141, 0x1600, v142
	v_add_u32_e32 v139, 0x2a00, v142
	v_add_u32_e32 v128, 0x1a00, v142
	v_add_u32_e32 v126, 0x2e00, v142
	v_add_u32_e32 v118, 0x1e00, v142
	v_add_u32_e32 v116, 0x3200, v142
	v_add_u32_e32 v109, 0x2200, v142
	v_add_u32_e32 v106, 0x3600, v142
	s_load_dwordx2 s[4:5], s[4:5], 0x38
	s_waitcnt vmcnt(22)
	v_lshrrev_b32_e32 v3, 16, v6
	v_mul_f16_sdwa v11, v140, v6 dst_sel:DWORD dst_unused:UNUSED_PAD src0_sel:WORD_1 src1_sel:DWORD
	v_mul_f16_sdwa v12, v140, v3 dst_sel:DWORD dst_unused:UNUSED_PAD src0_sel:WORD_1 src1_sel:DWORD
	v_fma_f16 v3, v140, v3, -v11
	v_fma_f16 v6, v140, v6, v12
	v_pack_b32_f16 v3, v6, v3
	s_waitcnt vmcnt(21)
	v_lshrrev_b32_e32 v11, 16, v7
	s_waitcnt vmcnt(20)
	v_mul_f16_sdwa v12, v136, v11 dst_sel:DWORD dst_unused:UNUSED_PAD src0_sel:WORD_1 src1_sel:DWORD
	v_fma_f16 v6, v136, v7, v12
	v_mul_f16_sdwa v7, v136, v7 dst_sel:DWORD dst_unused:UNUSED_PAD src0_sel:WORD_1 src1_sel:DWORD
	v_fma_f16 v7, v136, v11, -v7
	v_pack_b32_f16 v6, v6, v7
	v_mov_b32_e32 v7, s13
	ds_write_b32 v142, v6 offset:5000
	v_addc_co_u32_e32 v1, vcc, v1, v7, vcc
	global_load_dword v7, v[0:1], off
	global_load_dword v131, v[4:5], off offset:2808
	global_load_dword v125, v[4:5], off offset:3308
	;; [unrolled: 1-line block ×6, first 2 shown]
	s_waitcnt vmcnt(26)
	v_lshrrev_b32_e32 v6, 16, v8
	v_add_co_u32_e32 v0, vcc, s14, v0
	s_waitcnt vmcnt(25)
	v_mul_f16_sdwa v4, v134, v6 dst_sel:DWORD dst_unused:UNUSED_PAD src0_sel:WORD_1 src1_sel:DWORD
	v_mul_f16_sdwa v5, v134, v8 dst_sel:DWORD dst_unused:UNUSED_PAD src0_sel:WORD_1 src1_sel:DWORD
	v_fma_f16 v4, v134, v8, v4
	v_fma_f16 v5, v134, v6, -v5
	v_pack_b32_f16 v4, v4, v5
	ds_write_b32 v142, v4 offset:10000
	v_mov_b32_e32 v4, s7
	v_addc_co_u32_e32 v1, vcc, v1, v4, vcc
	global_load_dword v4, v[0:1], off
	v_mov_b32_e32 v8, s7
	v_add_co_u32_e32 v0, vcc, s14, v0
	v_addc_co_u32_e32 v1, vcc, v1, v8, vcc
	global_load_dword v8, v[0:1], off
	s_waitcnt vmcnt(26)
	v_lshrrev_b32_e32 v5, 16, v9
	s_waitcnt vmcnt(25)
	v_mul_f16_sdwa v6, v133, v5 dst_sel:DWORD dst_unused:UNUSED_PAD src0_sel:WORD_1 src1_sel:DWORD
	v_fma_f16 v6, v133, v9, v6
	v_mul_f16_sdwa v9, v133, v9 dst_sel:DWORD dst_unused:UNUSED_PAD src0_sel:WORD_1 src1_sel:DWORD
	v_mov_b32_e32 v11, s13
	v_add_co_u32_e32 v0, vcc, s12, v0
	v_addc_co_u32_e32 v1, vcc, v1, v11, vcc
	v_fma_f16 v5, v133, v5, -v9
	global_load_dword v11, v[0:1], off
	v_pack_b32_f16 v5, v6, v5
	ds_write2_b32 v142, v3, v5 offset1:125
	s_waitcnt vmcnt(25)
	v_lshrrev_b32_e32 v3, 16, v10
	s_waitcnt vmcnt(24)
	v_mul_f16_sdwa v6, v132, v10 dst_sel:DWORD dst_unused:UNUSED_PAD src0_sel:WORD_1 src1_sel:DWORD
	v_mul_f16_sdwa v5, v132, v3 dst_sel:DWORD dst_unused:UNUSED_PAD src0_sel:WORD_1 src1_sel:DWORD
	v_fma_f16 v3, v132, v3, -v6
	v_mov_b32_e32 v6, s7
	v_add_co_u32_e32 v0, vcc, s14, v0
	v_addc_co_u32_e32 v1, vcc, v1, v6, vcc
	global_load_dword v6, v[0:1], off
	v_mov_b32_e32 v9, s7
	v_add_co_u32_e32 v0, vcc, s14, v0
	v_addc_co_u32_e32 v1, vcc, v1, v9, vcc
	global_load_dword v9, v[0:1], off
	v_fma_f16 v5, v132, v10, v5
	v_mov_b32_e32 v10, s13
	v_add_co_u32_e32 v0, vcc, s12, v0
	v_addc_co_u32_e32 v1, vcc, v1, v10, vcc
	global_load_dword v10, v[0:1], off
	v_mov_b32_e32 v12, s7
	v_add_co_u32_e32 v0, vcc, s14, v0
	v_addc_co_u32_e32 v1, vcc, v1, v12, vcc
	global_load_dword v12, v[0:1], off
	v_add_co_u32_e32 v0, vcc, s14, v0
	v_addc_co_u32_e32 v1, vcc, v1, v13, vcc
	v_pack_b32_f16 v3, v5, v3
	s_waitcnt vmcnt(15)
	v_lshrrev_b32_e32 v5, 16, v2
	global_load_dword v13, v[0:1], off
	s_waitcnt vmcnt(15)
	v_mul_f16_sdwa v14, v135, v5 dst_sel:DWORD dst_unused:UNUSED_PAD src0_sel:WORD_1 src1_sel:DWORD
	v_fma_f16 v14, v135, v2, v14
	v_mul_f16_sdwa v2, v135, v2 dst_sel:DWORD dst_unused:UNUSED_PAD src0_sel:WORD_1 src1_sel:DWORD
	v_add_co_u32_e32 v0, vcc, s12, v0
	v_fma_f16 v2, v135, v5, -v2
	s_waitcnt vmcnt(14)
	v_lshrrev_b32_e32 v5, 16, v7
	v_addc_co_u32_e32 v1, vcc, v1, v15, vcc
	v_pack_b32_f16 v2, v14, v2
	v_mul_f16_sdwa v14, v129, v5 dst_sel:DWORD dst_unused:UNUSED_PAD src0_sel:WORD_1 src1_sel:DWORD
	global_load_dword v15, v[0:1], off
	v_fma_f16 v14, v129, v7, v14
	v_mul_f16_sdwa v7, v129, v7 dst_sel:DWORD dst_unused:UNUSED_PAD src0_sel:WORD_1 src1_sel:DWORD
	v_fma_f16 v5, v129, v5, -v7
	v_mov_b32_e32 v7, s7
	v_add_co_u32_e32 v0, vcc, s14, v0
	v_addc_co_u32_e32 v1, vcc, v1, v7, vcc
	global_load_dword v7, v[0:1], off
	v_pack_b32_f16 v5, v14, v5
	v_add_co_u32_e32 v0, vcc, s14, v0
	s_waitcnt vmcnt(9)
	v_lshrrev_b32_e32 v14, 16, v4
	v_mul_f16_sdwa v16, v130, v14 dst_sel:DWORD dst_unused:UNUSED_PAD src0_sel:WORD_1 src1_sel:DWORD
	v_fma_f16 v16, v130, v4, v16
	v_mul_f16_sdwa v4, v130, v4 dst_sel:DWORD dst_unused:UNUSED_PAD src0_sel:WORD_1 src1_sel:DWORD
	v_fma_f16 v4, v130, v14, -v4
	v_pack_b32_f16 v4, v16, v4
	ds_write2_b32 v162, v3, v4 offset0:95 offset1:220
	s_waitcnt vmcnt(8)
	v_lshrrev_b32_e32 v3, 16, v8
	v_mul_f16_sdwa v4, v131, v3 dst_sel:DWORD dst_unused:UNUSED_PAD src0_sel:WORD_1 src1_sel:DWORD
	v_fma_f16 v4, v131, v8, v4
	v_mul_f16_sdwa v8, v131, v8 dst_sel:DWORD dst_unused:UNUSED_PAD src0_sel:WORD_1 src1_sel:DWORD
	v_fma_f16 v3, v131, v3, -v8
	v_pack_b32_f16 v3, v4, v3
	v_mov_b32_e32 v4, s7
	v_addc_co_u32_e32 v1, vcc, v1, v4, vcc
	v_add_co_u32_e32 v97, vcc, s15, v147
	global_load_dword v4, v[0:1], off
	v_addc_co_u32_e32 v98, vcc, 0, v148, vcc
	global_load_dword v117, v[97:98], off offset:212
	ds_write2_b32 v149, v2, v3 offset0:65 offset1:190
	s_waitcnt vmcnt(9)
	v_lshrrev_b32_e32 v2, 16, v11
	v_mul_f16_sdwa v3, v123, v2 dst_sel:DWORD dst_unused:UNUSED_PAD src0_sel:WORD_1 src1_sel:DWORD
	v_mul_f16_sdwa v8, v123, v11 dst_sel:DWORD dst_unused:UNUSED_PAD src0_sel:WORD_1 src1_sel:DWORD
	v_fma_f16 v3, v123, v11, v3
	v_fma_f16 v2, v123, v2, -v8
	v_pack_b32_f16 v2, v3, v2
	ds_write2_b32 v138, v5, v2 offset0:122 offset1:247
	s_waitcnt vmcnt(8)
	v_lshrrev_b32_e32 v2, 16, v6
	v_mul_f16_sdwa v3, v124, v2 dst_sel:DWORD dst_unused:UNUSED_PAD src0_sel:WORD_1 src1_sel:DWORD
	v_mul_f16_sdwa v5, v124, v6 dst_sel:DWORD dst_unused:UNUSED_PAD src0_sel:WORD_1 src1_sel:DWORD
	v_fma_f16 v3, v124, v6, v3
	v_fma_f16 v2, v124, v2, -v5
	v_pack_b32_f16 v2, v3, v2
	s_waitcnt vmcnt(7)
	v_lshrrev_b32_e32 v3, 16, v9
	v_mul_f16_sdwa v5, v125, v3 dst_sel:DWORD dst_unused:UNUSED_PAD src0_sel:WORD_1 src1_sel:DWORD
	v_mul_f16_sdwa v6, v125, v9 dst_sel:DWORD dst_unused:UNUSED_PAD src0_sel:WORD_1 src1_sel:DWORD
	v_fma_f16 v5, v125, v9, v5
	v_fma_f16 v3, v125, v3, -v6
	v_pack_b32_f16 v3, v5, v3
	;; [unrolled: 7-line block ×4, first 2 shown]
	ds_write2_b32 v144, v2, v6 offset0:89 offset1:214
	s_waitcnt vmcnt(4)
	v_lshrrev_b32_e32 v2, 16, v13
	v_mul_f16_sdwa v6, v122, v2 dst_sel:DWORD dst_unused:UNUSED_PAD src0_sel:WORD_1 src1_sel:DWORD
	v_mul_f16_sdwa v8, v122, v13 dst_sel:DWORD dst_unused:UNUSED_PAD src0_sel:WORD_1 src1_sel:DWORD
	v_fma_f16 v6, v122, v13, v6
	v_fma_f16 v2, v122, v2, -v8
	v_pack_b32_f16 v2, v6, v2
	ds_write2_b32 v150, v3, v2 offset0:59 offset1:184
	v_add_co_u32_e32 v0, vcc, s12, v0
	v_mov_b32_e32 v8, s13
	v_mov_b32_e32 v9, s7
	;; [unrolled: 1-line block ×3, first 2 shown]
	s_waitcnt vmcnt(3)
	v_lshrrev_b32_e32 v2, 16, v15
	v_mul_f16_sdwa v3, v115, v2 dst_sel:DWORD dst_unused:UNUSED_PAD src0_sel:WORD_1 src1_sel:DWORD
	v_mul_f16_sdwa v6, v115, v15 dst_sel:DWORD dst_unused:UNUSED_PAD src0_sel:WORD_1 src1_sel:DWORD
	v_fma_f16 v3, v115, v15, v3
	v_fma_f16 v2, v115, v2, -v6
	v_pack_b32_f16 v2, v3, v2
	v_mov_b32_e32 v6, s13
	ds_write2_b32 v127, v5, v2 offset0:116 offset1:241
	v_addc_co_u32_e32 v1, vcc, v1, v6, vcc
	s_waitcnt vmcnt(2)
	v_lshrrev_b32_e32 v2, 16, v7
	v_mul_f16_sdwa v3, v114, v2 dst_sel:DWORD dst_unused:UNUSED_PAD src0_sel:WORD_1 src1_sel:DWORD
	global_load_dword v6, v[0:1], off
	v_fma_f16 v3, v114, v7, v3
	v_mul_f16_sdwa v5, v114, v7 dst_sel:DWORD dst_unused:UNUSED_PAD src0_sel:WORD_1 src1_sel:DWORD
	v_mov_b32_e32 v7, s7
	v_add_co_u32_e32 v0, vcc, s14, v0
	v_addc_co_u32_e32 v1, vcc, v1, v7, vcc
	global_load_dword v7, v[0:1], off
	v_fma_f16 v2, v114, v2, -v5
	v_pack_b32_f16 v2, v3, v2
	v_mov_b32_e32 v3, s7
	v_add_co_u32_e32 v0, vcc, s14, v0
	v_addc_co_u32_e32 v1, vcc, v1, v3, vcc
	global_load_dword v3, v[0:1], off
	global_load_dword v113, v[97:98], off offset:712
	v_add_co_u32_e32 v0, vcc, s12, v0
	v_addc_co_u32_e32 v1, vcc, v1, v8, vcc
	global_load_dword v8, v[0:1], off
	v_add_co_u32_e32 v0, vcc, s14, v0
	v_addc_co_u32_e32 v1, vcc, v1, v9, vcc
	global_load_dword v9, v[0:1], off
	;; [unrolled: 3-line block ×3, first 2 shown]
	global_load_dword v108, v[97:98], off offset:1212
	v_mov_b32_e32 v11, s13
	v_add_co_u32_e32 v0, vcc, s12, v0
	v_addc_co_u32_e32 v1, vcc, v1, v11, vcc
	global_load_dword v11, v[0:1], off
	global_load_dword v104, v142, s[0:1] offset:4000
	v_mov_b32_e32 v12, s7
	v_add_co_u32_e32 v0, vcc, s14, v0
	v_addc_co_u32_e32 v1, vcc, v1, v12, vcc
	global_load_dword v12, v[0:1], off
	v_mov_b32_e32 v13, s7
	v_add_co_u32_e32 v0, vcc, s14, v0
	v_addc_co_u32_e32 v1, vcc, v1, v13, vcc
	global_load_dword v13, v[0:1], off
	global_load_dword v103, v[97:98], off offset:1712
	global_load_dword v101, v[97:98], off offset:2212
	v_mov_b32_e32 v15, s13
	v_add_co_u32_e32 v0, vcc, s12, v0
	s_waitcnt vmcnt(15)
	v_lshrrev_b32_e32 v5, 16, v4
	v_addc_co_u32_e32 v1, vcc, v1, v15, vcc
	s_waitcnt vmcnt(14)
	v_mul_f16_sdwa v14, v117, v5 dst_sel:DWORD dst_unused:UNUSED_PAD src0_sel:WORD_1 src1_sel:DWORD
	global_load_dword v15, v[0:1], off
	v_fma_f16 v14, v117, v4, v14
	v_mul_f16_sdwa v4, v117, v4 dst_sel:DWORD dst_unused:UNUSED_PAD src0_sel:WORD_1 src1_sel:DWORD
	v_fma_f16 v4, v117, v5, -v4
	v_mov_b32_e32 v5, s7
	v_add_co_u32_e32 v0, vcc, s14, v0
	v_addc_co_u32_e32 v1, vcc, v1, v5, vcc
	global_load_dword v5, v[0:1], off
	v_pack_b32_f16 v4, v14, v4
	v_mov_b32_e32 v14, s7
	v_add_co_u32_e32 v0, vcc, s14, v0
	v_addc_co_u32_e32 v1, vcc, v1, v14, vcc
	global_load_dword v0, v[0:1], off
	s_movk_i32 s14, 0x3aee
	s_mov_b32 s0, 0xbaee
	v_add_co_u32_e32 v83, vcc, s6, v137
	s_movk_i32 s1, 0xfa
	v_add_co_u32_e32 v82, vcc, s1, v137
	s_waitcnt vmcnt(16)
	v_lshrrev_b32_e32 v1, 16, v6
	v_mul_f16_sdwa v14, v112, v1 dst_sel:DWORD dst_unused:UNUSED_PAD src0_sel:WORD_1 src1_sel:DWORD
	v_fma_f16 v14, v112, v6, v14
	v_mul_f16_sdwa v6, v112, v6 dst_sel:DWORD dst_unused:UNUSED_PAD src0_sel:WORD_1 src1_sel:DWORD
	v_fma_f16 v1, v112, v1, -v6
	v_pack_b32_f16 v1, v14, v1
	s_movk_i32 s1, 0x177
	s_waitcnt vmcnt(15)
	v_lshrrev_b32_e32 v6, 16, v7
	v_mul_f16_sdwa v14, v111, v6 dst_sel:DWORD dst_unused:UNUSED_PAD src0_sel:WORD_1 src1_sel:DWORD
	v_fma_f16 v14, v111, v7, v14
	v_mul_f16_sdwa v7, v111, v7 dst_sel:DWORD dst_unused:UNUSED_PAD src0_sel:WORD_1 src1_sel:DWORD
	v_fma_f16 v6, v111, v6, -v7
	v_pack_b32_f16 v6, v14, v6
	ds_write2_b32 v153, v2, v6 offset0:83 offset1:208
	s_waitcnt vmcnt(14)
	v_lshrrev_b32_e32 v2, 16, v3
	s_waitcnt vmcnt(13)
	v_mul_f16_sdwa v6, v113, v2 dst_sel:DWORD dst_unused:UNUSED_PAD src0_sel:WORD_1 src1_sel:DWORD
	v_fma_f16 v6, v113, v3, v6
	v_mul_f16_sdwa v3, v113, v3 dst_sel:DWORD dst_unused:UNUSED_PAD src0_sel:WORD_1 src1_sel:DWORD
	v_fma_f16 v2, v113, v2, -v3
	v_pack_b32_f16 v2, v6, v2
	ds_write2_b32 v146, v4, v2 offset0:53 offset1:178
	s_waitcnt vmcnt(12)
	v_lshrrev_b32_e32 v2, 16, v8
	v_mul_f16_sdwa v3, v105, v2 dst_sel:DWORD dst_unused:UNUSED_PAD src0_sel:WORD_1 src1_sel:DWORD
	v_mul_f16_sdwa v4, v105, v8 dst_sel:DWORD dst_unused:UNUSED_PAD src0_sel:WORD_1 src1_sel:DWORD
	v_fma_f16 v3, v105, v8, v3
	v_fma_f16 v2, v105, v2, -v4
	v_pack_b32_f16 v2, v3, v2
	ds_write2_b32 v119, v1, v2 offset0:110 offset1:235
	s_waitcnt vmcnt(11)
	v_lshrrev_b32_e32 v1, 16, v9
	v_mul_f16_sdwa v2, v107, v1 dst_sel:DWORD dst_unused:UNUSED_PAD src0_sel:WORD_1 src1_sel:DWORD
	v_mul_f16_sdwa v3, v107, v9 dst_sel:DWORD dst_unused:UNUSED_PAD src0_sel:WORD_1 src1_sel:DWORD
	v_fma_f16 v2, v107, v9, v2
	v_fma_f16 v1, v107, v1, -v3
	v_pack_b32_f16 v1, v2, v1
	s_waitcnt vmcnt(10)
	v_lshrrev_b32_e32 v2, 16, v10
	s_waitcnt vmcnt(9)
	v_mul_f16_sdwa v3, v108, v2 dst_sel:DWORD dst_unused:UNUSED_PAD src0_sel:WORD_1 src1_sel:DWORD
	v_mul_f16_sdwa v4, v108, v10 dst_sel:DWORD dst_unused:UNUSED_PAD src0_sel:WORD_1 src1_sel:DWORD
	v_fma_f16 v3, v108, v10, v3
	v_fma_f16 v2, v108, v2, -v4
	v_pack_b32_f16 v2, v3, v2
	s_waitcnt vmcnt(8)
	v_lshrrev_b32_e32 v3, 16, v11
	s_waitcnt vmcnt(7)
	v_mul_f16_sdwa v4, v104, v3 dst_sel:DWORD dst_unused:UNUSED_PAD src0_sel:WORD_1 src1_sel:DWORD
	v_mul_f16_sdwa v6, v104, v11 dst_sel:DWORD dst_unused:UNUSED_PAD src0_sel:WORD_1 src1_sel:DWORD
	v_fma_f16 v4, v104, v11, v4
	v_fma_f16 v3, v104, v3, -v6
	v_pack_b32_f16 v3, v4, v3
	s_waitcnt vmcnt(6)
	v_lshrrev_b32_e32 v4, 16, v12
	v_mul_f16_sdwa v6, v102, v4 dst_sel:DWORD dst_unused:UNUSED_PAD src0_sel:WORD_1 src1_sel:DWORD
	v_mul_f16_sdwa v7, v102, v12 dst_sel:DWORD dst_unused:UNUSED_PAD src0_sel:WORD_1 src1_sel:DWORD
	v_fma_f16 v6, v102, v12, v6
	v_fma_f16 v4, v102, v4, -v7
	v_pack_b32_f16 v4, v6, v4
	ds_write2_b32 v154, v1, v4 offset0:77 offset1:202
	s_waitcnt vmcnt(5)
	v_lshrrev_b32_e32 v1, 16, v13
	s_waitcnt vmcnt(4)
	v_mul_f16_sdwa v4, v103, v1 dst_sel:DWORD dst_unused:UNUSED_PAD src0_sel:WORD_1 src1_sel:DWORD
	v_mul_f16_sdwa v6, v103, v13 dst_sel:DWORD dst_unused:UNUSED_PAD src0_sel:WORD_1 src1_sel:DWORD
	v_fma_f16 v4, v103, v13, v4
	v_fma_f16 v1, v103, v1, -v6
	v_pack_b32_f16 v1, v4, v1
	ds_write2_b32 v152, v2, v1 offset0:47 offset1:172
	s_waitcnt vmcnt(2)
	v_lshrrev_b32_e32 v1, 16, v15
	v_mul_f16_sdwa v2, v100, v1 dst_sel:DWORD dst_unused:UNUSED_PAD src0_sel:WORD_1 src1_sel:DWORD
	v_mul_f16_sdwa v4, v100, v15 dst_sel:DWORD dst_unused:UNUSED_PAD src0_sel:WORD_1 src1_sel:DWORD
	v_fma_f16 v2, v100, v15, v2
	v_fma_f16 v1, v100, v1, -v4
	v_pack_b32_f16 v1, v2, v1
	ds_write2_b32 v110, v3, v1 offset0:104 offset1:229
	s_waitcnt vmcnt(1)
	v_lshrrev_b32_e32 v1, 16, v5
	v_mul_f16_sdwa v2, v99, v1 dst_sel:DWORD dst_unused:UNUSED_PAD src0_sel:WORD_1 src1_sel:DWORD
	v_mul_f16_sdwa v3, v99, v5 dst_sel:DWORD dst_unused:UNUSED_PAD src0_sel:WORD_1 src1_sel:DWORD
	v_fma_f16 v2, v99, v5, v2
	v_fma_f16 v1, v99, v1, -v3
	v_pack_b32_f16 v1, v2, v1
	ds_write_b32 v142, v1 offset:9500
	s_waitcnt vmcnt(0)
	v_lshrrev_b32_e32 v1, 16, v0
	v_mul_f16_sdwa v2, v101, v1 dst_sel:DWORD dst_unused:UNUSED_PAD src0_sel:WORD_1 src1_sel:DWORD
	v_fma_f16 v2, v101, v0, v2
	v_mul_f16_sdwa v0, v101, v0 dst_sel:DWORD dst_unused:UNUSED_PAD src0_sel:WORD_1 src1_sel:DWORD
	v_fma_f16 v0, v101, v1, -v0
	v_pack_b32_f16 v0, v2, v0
	ds_write_b32 v142, v0 offset:14500
	s_waitcnt lgkmcnt(0)
	s_barrier
	ds_read2_b32 v[0:1], v142 offset1:125
	ds_read2_b32 v[2:3], v138 offset0:122 offset1:247
	ds_read2_b32 v[4:5], v145 offset0:98 offset1:223
	;; [unrolled: 1-line block ×6, first 2 shown]
	s_waitcnt lgkmcnt(6)
	v_lshrrev_b32_e32 v28, 16, v0
	s_waitcnt lgkmcnt(4)
	v_add_f16_e32 v36, v0, v4
	s_waitcnt lgkmcnt(3)
	v_add_f16_e32 v37, v4, v6
	v_fma_f16 v37, v37, -0.5, v0
	v_add_f16_sdwa v0, v28, v4 dst_sel:DWORD dst_unused:UNUSED_PAD src0_sel:DWORD src1_sel:WORD_1
	v_add_f16_sdwa v39, v0, v6 dst_sel:DWORD dst_unused:UNUSED_PAD src0_sel:DWORD src1_sel:WORD_1
	v_add_f16_e32 v0, v1, v5
	v_lshrrev_b32_e32 v29, 16, v1
	v_add_f16_e32 v36, v36, v6
	v_sub_f16_sdwa v38, v4, v6 dst_sel:DWORD dst_unused:UNUSED_PAD src0_sel:WORD_1 src1_sel:WORD_1
	v_add_f16_sdwa v40, v4, v6 dst_sel:DWORD dst_unused:UNUSED_PAD src0_sel:WORD_1 src1_sel:WORD_1
	v_sub_f16_e32 v4, v4, v6
	v_add_f16_e32 v6, v0, v7
	v_add_f16_e32 v0, v5, v7
	v_fma_f16 v41, v0, -0.5, v1
	v_add_f16_sdwa v0, v29, v5 dst_sel:DWORD dst_unused:UNUSED_PAD src0_sel:DWORD src1_sel:WORD_1
	v_add_f16_sdwa v43, v0, v7 dst_sel:DWORD dst_unused:UNUSED_PAD src0_sel:DWORD src1_sel:WORD_1
	s_waitcnt lgkmcnt(1)
	v_add_f16_e32 v0, v2, v10
	v_lshrrev_b32_e32 v30, 16, v2
	ds_read2_b32 v[14:15], v119 offset0:110 offset1:235
	ds_read2_b32 v[16:17], v128 offset0:86 offset1:211
	v_sub_f16_sdwa v42, v5, v7 dst_sel:DWORD dst_unused:UNUSED_PAD src0_sel:WORD_1 src1_sel:WORD_1
	v_add_f16_sdwa v44, v5, v7 dst_sel:DWORD dst_unused:UNUSED_PAD src0_sel:WORD_1 src1_sel:WORD_1
	v_sub_f16_e32 v5, v5, v7
	s_waitcnt lgkmcnt(2)
	v_add_f16_e32 v7, v0, v12
	v_add_f16_e32 v0, v10, v12
	ds_read2_b32 v[18:19], v126 offset0:56 offset1:181
	v_fma_f16 v2, v0, -0.5, v2
	v_add_f16_sdwa v0, v30, v10 dst_sel:DWORD dst_unused:UNUSED_PAD src0_sel:DWORD src1_sel:WORD_1
	v_add_f16_sdwa v46, v0, v12 dst_sel:DWORD dst_unused:UNUSED_PAD src0_sel:DWORD src1_sel:WORD_1
	v_add_f16_e32 v0, v3, v11
	v_lshrrev_b32_e32 v31, 16, v3
	v_sub_f16_sdwa v45, v10, v12 dst_sel:DWORD dst_unused:UNUSED_PAD src0_sel:WORD_1 src1_sel:WORD_1
	v_add_f16_sdwa v47, v10, v12 dst_sel:DWORD dst_unused:UNUSED_PAD src0_sel:WORD_1 src1_sel:WORD_1
	v_sub_f16_e32 v10, v10, v12
	v_add_f16_e32 v12, v0, v13
	v_add_f16_e32 v0, v11, v13
	v_fma_f16 v3, v0, -0.5, v3
	v_add_f16_sdwa v0, v31, v11 dst_sel:DWORD dst_unused:UNUSED_PAD src0_sel:DWORD src1_sel:WORD_1
	v_add_f16_sdwa v49, v0, v13 dst_sel:DWORD dst_unused:UNUSED_PAD src0_sel:DWORD src1_sel:WORD_1
	s_waitcnt lgkmcnt(1)
	v_add_f16_e32 v0, v8, v16
	v_lshrrev_b32_e32 v32, 16, v8
	ds_read2_b32 v[20:21], v118 offset0:80 offset1:205
	ds_read2_b32 v[22:23], v116 offset0:50 offset1:175
	v_sub_f16_sdwa v48, v11, v13 dst_sel:DWORD dst_unused:UNUSED_PAD src0_sel:WORD_1 src1_sel:WORD_1
	v_add_f16_sdwa v50, v11, v13 dst_sel:DWORD dst_unused:UNUSED_PAD src0_sel:WORD_1 src1_sel:WORD_1
	v_sub_f16_e32 v11, v11, v13
	s_waitcnt lgkmcnt(2)
	v_add_f16_e32 v13, v0, v18
	v_add_f16_e32 v0, v16, v18
	v_fma_f16 v8, v0, -0.5, v8
	v_add_f16_sdwa v0, v32, v16 dst_sel:DWORD dst_unused:UNUSED_PAD src0_sel:DWORD src1_sel:WORD_1
	v_add_f16_sdwa v52, v0, v18 dst_sel:DWORD dst_unused:UNUSED_PAD src0_sel:DWORD src1_sel:WORD_1
	v_add_f16_e32 v0, v9, v17
	v_lshrrev_b32_e32 v33, 16, v9
	v_sub_f16_sdwa v51, v16, v18 dst_sel:DWORD dst_unused:UNUSED_PAD src0_sel:WORD_1 src1_sel:WORD_1
	v_add_f16_sdwa v53, v16, v18 dst_sel:DWORD dst_unused:UNUSED_PAD src0_sel:WORD_1 src1_sel:WORD_1
	v_sub_f16_e32 v16, v16, v18
	v_add_f16_e32 v18, v0, v19
	v_add_f16_e32 v0, v17, v19
	v_fma_f16 v9, v0, -0.5, v9
	v_add_f16_sdwa v0, v33, v17 dst_sel:DWORD dst_unused:UNUSED_PAD src0_sel:DWORD src1_sel:WORD_1
	v_add_f16_sdwa v56, v0, v19 dst_sel:DWORD dst_unused:UNUSED_PAD src0_sel:DWORD src1_sel:WORD_1
	s_waitcnt lgkmcnt(0)
	v_add_f16_e32 v0, v20, v22
	v_lshrrev_b32_e32 v34, 16, v14
	v_sub_f16_sdwa v54, v17, v19 dst_sel:DWORD dst_unused:UNUSED_PAD src0_sel:WORD_1 src1_sel:WORD_1
	v_add_f16_sdwa v55, v17, v19 dst_sel:DWORD dst_unused:UNUSED_PAD src0_sel:WORD_1 src1_sel:WORD_1
	v_sub_f16_e32 v17, v17, v19
	v_add_f16_e32 v19, v14, v20
	v_fma_f16 v14, v0, -0.5, v14
	v_add_f16_e32 v0, v21, v23
	v_lshrrev_b32_e32 v35, 16, v15
	ds_read2_b32 v[24:25], v110 offset0:104 offset1:229
	ds_read2_b32 v[26:27], v109 offset0:74 offset1:199
	v_add_f16_e32 v60, v15, v21
	v_fma_f16 v15, v0, -0.5, v15
	ds_read2_b32 v[0:1], v106 offset0:44 offset1:169
	v_add_f16_sdwa v58, v34, v20 dst_sel:DWORD dst_unused:UNUSED_PAD src0_sel:DWORD src1_sel:WORD_1
	v_sub_f16_sdwa v57, v20, v22 dst_sel:DWORD dst_unused:UNUSED_PAD src0_sel:WORD_1 src1_sel:WORD_1
	v_add_f16_sdwa v59, v20, v22 dst_sel:DWORD dst_unused:UNUSED_PAD src0_sel:WORD_1 src1_sel:WORD_1
	v_sub_f16_e32 v20, v20, v22
	v_add_f16_e32 v19, v19, v22
	v_add_f16_sdwa v22, v58, v22 dst_sel:DWORD dst_unused:UNUSED_PAD src0_sel:DWORD src1_sel:WORD_1
	v_add_f16_e32 v58, v60, v23
	s_waitcnt lgkmcnt(0)
	v_add_f16_e32 v60, v26, v0
	v_lshrrev_b32_e32 v64, 16, v24
	v_fma_f16 v60, v60, -0.5, v24
	v_add_f16_e32 v24, v24, v26
	v_add_f16_sdwa v67, v64, v26 dst_sel:DWORD dst_unused:UNUSED_PAD src0_sel:DWORD src1_sel:WORD_1
	v_fma_f16 v28, v40, -0.5, v28
	v_sub_f16_sdwa v66, v26, v0 dst_sel:DWORD dst_unused:UNUSED_PAD src0_sel:WORD_1 src1_sel:WORD_1
	v_add_f16_sdwa v68, v26, v0 dst_sel:DWORD dst_unused:UNUSED_PAD src0_sel:WORD_1 src1_sel:WORD_1
	v_sub_f16_e32 v26, v26, v0
	v_add_f16_e32 v24, v24, v0
	v_add_f16_sdwa v0, v67, v0 dst_sel:DWORD dst_unused:UNUSED_PAD src0_sel:DWORD src1_sel:WORD_1
	v_fma_f16 v40, v38, s14, v37
	v_fma_f16 v67, v4, s0, v28
	v_pack_b32_f16 v36, v36, v39
	v_mul_lo_u16_e32 v39, 3, v137
	v_pack_b32_f16 v40, v40, v67
	v_lshlrev_b32_e32 v151, 2, v39
	v_fma_f16 v29, v44, -0.5, v29
	s_barrier
	ds_write2_b32 v151, v36, v40 offset1:1
	v_fma_f16 v36, v38, s0, v37
	v_fma_f16 v4, v4, s14, v28
	;; [unrolled: 1-line block ×6, first 2 shown]
	v_pack_b32_f16 v28, v28, v38
	v_mul_u32_u24_e32 v38, 3, v83
	v_fma_f16 v30, v47, -0.5, v30
	v_pack_b32_f16 v4, v36, v4
	v_lshlrev_b32_e32 v156, 2, v38
	v_pack_b32_f16 v5, v37, v5
	v_fma_f16 v29, v45, s14, v2
	v_fma_f16 v2, v45, s0, v2
	;; [unrolled: 1-line block ×4, first 2 shown]
	ds_write_b32 v151, v4 offset:8
	ds_write_b32 v156, v5 offset:8
	v_mul_u32_u24_e32 v5, 3, v82
	v_fma_f16 v31, v50, -0.5, v31
	v_fma_f16 v33, v55, -0.5, v33
	v_add_co_u32_e32 v55, vcc, s1, v137
	v_pack_b32_f16 v6, v6, v43
	v_lshlrev_b32_e32 v161, 2, v5
	v_pack_b32_f16 v2, v2, v10
	v_fma_f16 v30, v48, s14, v3
	v_fma_f16 v40, v11, s0, v31
	ds_write2_b32 v156, v6, v28 offset1:1
	v_pack_b32_f16 v5, v29, v39
	v_pack_b32_f16 v6, v7, v46
	ds_write_b32 v161, v2 offset:8
	v_mul_u32_u24_e32 v2, 3, v55
	v_fma_f16 v3, v48, s0, v3
	v_fma_f16 v11, v11, s14, v31
	s_movk_i32 s1, 0x1f4
	ds_write2_b32 v161, v6, v5 offset1:1
	v_lshlrev_b32_e32 v165, 2, v2
	v_pack_b32_f16 v2, v30, v40
	v_pack_b32_f16 v5, v12, v49
	v_fma_f16 v32, v53, -0.5, v32
	v_add_co_u32_e32 v81, vcc, s1, v137
	ds_write2_b32 v165, v5, v2 offset1:1
	v_pack_b32_f16 v2, v3, v11
	v_fma_f16 v31, v51, s14, v8
	v_fma_f16 v41, v16, s0, v32
	ds_write_b32 v165, v2 offset:8
	v_mul_u32_u24_e32 v2, 3, v81
	v_fma_f16 v8, v51, s0, v8
	v_fma_f16 v16, v16, s14, v32
	s_movk_i32 s1, 0x271
	v_lshlrev_b32_e32 v166, 2, v2
	v_pack_b32_f16 v2, v31, v41
	v_pack_b32_f16 v3, v13, v52
	v_add_co_u32_e32 v80, vcc, s1, v137
	ds_write2_b32 v166, v3, v2 offset1:1
	v_pack_b32_f16 v2, v8, v16
	v_fma_f16 v32, v54, s14, v9
	v_fma_f16 v42, v17, s0, v33
	ds_write_b32 v166, v2 offset:8
	v_mul_u32_u24_e32 v2, 3, v80
	v_fma_f16 v9, v54, s0, v9
	v_fma_f16 v17, v17, s14, v33
	v_lshlrev_b32_e32 v167, 2, v2
	v_pack_b32_f16 v2, v32, v42
	v_pack_b32_f16 v3, v18, v56
	v_add_f16_sdwa v62, v35, v21 dst_sel:DWORD dst_unused:UNUSED_PAD src0_sel:DWORD src1_sel:WORD_1
	v_fma_f16 v34, v59, -0.5, v34
	v_add_u32_e32 v53, 0x2ee, v137
	ds_write2_b32 v167, v3, v2 offset1:1
	v_pack_b32_f16 v2, v9, v17
	v_sub_f16_sdwa v61, v21, v23 dst_sel:DWORD dst_unused:UNUSED_PAD src0_sel:WORD_1 src1_sel:WORD_1
	v_add_f16_sdwa v63, v21, v23 dst_sel:DWORD dst_unused:UNUSED_PAD src0_sel:WORD_1 src1_sel:WORD_1
	v_sub_f16_e32 v21, v21, v23
	v_add_f16_sdwa v23, v62, v23 dst_sel:DWORD dst_unused:UNUSED_PAD src0_sel:DWORD src1_sel:WORD_1
	v_add_f16_e32 v62, v27, v1
	v_lshrrev_b32_e32 v65, 16, v25
	v_add_f16_sdwa v71, v27, v1 dst_sel:DWORD dst_unused:UNUSED_PAD src0_sel:WORD_1 src1_sel:WORD_1
	v_fma_f16 v33, v57, s14, v14
	v_fma_f16 v44, v20, s0, v34
	ds_write_b32 v167, v2 offset:8
	v_mul_u32_u24_e32 v2, 3, v53
	v_fma_f16 v62, v62, -0.5, v25
	v_add_f16_e32 v25, v25, v27
	v_sub_f16_sdwa v69, v27, v1 dst_sel:DWORD dst_unused:UNUSED_PAD src0_sel:WORD_1 src1_sel:WORD_1
	v_add_f16_sdwa v70, v65, v27 dst_sel:DWORD dst_unused:UNUSED_PAD src0_sel:DWORD src1_sel:WORD_1
	v_sub_f16_e32 v27, v27, v1
	v_fma_f16 v14, v57, s0, v14
	v_fma_f16 v20, v20, s14, v34
	v_fma_f16 v54, v71, -0.5, v65
	v_lshlrev_b32_e32 v168, 2, v2
	v_pack_b32_f16 v2, v33, v44
	v_pack_b32_f16 v3, v19, v22
	v_fma_f16 v35, v63, -0.5, v35
	v_fma_f16 v57, v27, s0, v54
	v_fma_f16 v27, v27, s14, v54
	v_add_u32_e32 v54, 0x36b, v137
	ds_write2_b32 v168, v3, v2 offset1:1
	v_pack_b32_f16 v2, v14, v20
	v_fma_f16 v34, v61, s14, v15
	v_fma_f16 v45, v21, s0, v35
	ds_write_b32 v168, v2 offset:8
	v_mul_u32_u24_e32 v2, 3, v54
	v_fma_f16 v15, v61, s0, v15
	v_fma_f16 v21, v21, s14, v35
	v_lshlrev_b32_e32 v169, 2, v2
	v_pack_b32_f16 v2, v34, v45
	v_pack_b32_f16 v3, v58, v23
	v_fma_f16 v48, v68, -0.5, v64
	v_add_u32_e32 v36, 0x3e8, v137
	ds_write2_b32 v169, v3, v2 offset1:1
	v_pack_b32_f16 v2, v15, v21
	v_fma_f16 v35, v66, s14, v60
	v_fma_f16 v50, v26, s0, v48
	ds_write_b32 v169, v2 offset:8
	v_mul_u32_u24_e32 v2, 3, v36
	v_fma_f16 v47, v66, s0, v60
	v_fma_f16 v26, v26, s14, v48
	v_lshlrev_b32_e32 v164, 2, v2
	v_pack_b32_f16 v2, v35, v50
	v_pack_b32_f16 v0, v24, v0
	v_add_u32_e32 v4, 0x465, v137
	ds_write2_b32 v164, v0, v2 offset1:1
	v_pack_b32_f16 v0, v47, v26
	v_add_f16_e32 v25, v25, v1
	v_add_f16_sdwa v1, v70, v1 dst_sel:DWORD dst_unused:UNUSED_PAD src0_sel:DWORD src1_sel:WORD_1
	v_fma_f16 v48, v69, s14, v62
	ds_write_b32 v164, v0 offset:8
	v_mul_u32_u24_e32 v0, 3, v4
	v_fma_f16 v51, v69, s0, v62
	v_lshlrev_b32_e32 v163, 2, v0
	v_pack_b32_f16 v0, v48, v57
	v_pack_b32_f16 v1, v25, v1
	ds_write2_b32 v163, v1, v0 offset1:1
	v_pack_b32_f16 v0, v51, v27
	s_movk_i32 s0, 0xab
	ds_write_b32 v163, v0 offset:8
	v_mul_lo_u16_sdwa v0, v137, s0 dst_sel:DWORD dst_unused:UNUSED_PAD src0_sel:BYTE_0 src1_sel:DWORD
	v_lshrrev_b16_e32 v20, 9, v0
	v_mul_lo_u16_e32 v0, 3, v20
	v_sub_u16_e32 v0, v137, v0
	v_and_b32_e32 v21, 0xff, v0
	v_lshlrev_b32_e32 v0, 4, v21
	s_waitcnt lgkmcnt(0)
	s_barrier
	global_load_dwordx4 v[0:3], v0, s[2:3]
	v_mul_lo_u16_sdwa v4, v83, s0 dst_sel:DWORD dst_unused:UNUSED_PAD src0_sel:BYTE_0 src1_sel:DWORD
	v_lshrrev_b16_e32 v26, 9, v4
	v_mul_lo_u16_e32 v4, 3, v26
	v_sub_u16_e32 v4, v83, v4
	v_and_b32_e32 v27, 0xff, v4
	v_lshlrev_b32_e32 v4, 4, v27
	ds_read2_b32 v[8:9], v142 offset1:125
	ds_read2_b32 v[16:17], v119 offset0:110 offset1:235
	ds_read2_b32 v[14:15], v141 offset0:92 offset1:217
	;; [unrolled: 1-line block ×4, first 2 shown]
	global_load_dwordx4 v[4:7], v4, s[2:3]
	s_waitcnt lgkmcnt(3)
	v_lshrrev_b32_e32 v18, 16, v16
	s_waitcnt lgkmcnt(2)
	v_lshrrev_b32_e32 v19, 16, v14
	;; [unrolled: 2-line block ×4, first 2 shown]
	s_mov_b32 s13, 0xaaab
	v_lshrrev_b32_e32 v40, 16, v8
	s_movk_i32 s0, 0x3b9c
	s_mov_b32 s12, 0xbb9c
	v_mul_u32_u24_e32 v20, 15, v20
	s_movk_i32 s7, 0x38b4
	s_mov_b32 s6, 0xb8b4
	v_add_lshl_u32 v155, v20, v21, 2
	s_movk_i32 s1, 0x34f2
	ds_read2_b32 v[47:48], v138 offset0:122 offset1:247
	ds_read2_b32 v[49:50], v110 offset0:104 offset1:229
	ds_read2_b32 v[51:52], v128 offset0:86 offset1:211
	ds_read2_b32 v[53:54], v143 offset0:68 offset1:193
	ds_read2_b32 v[56:57], v116 offset0:50 offset1:175
	ds_read2_b32 v[58:59], v127 offset0:116 offset1:241
	ds_read2_b32 v[60:61], v145 offset0:98 offset1:223
	ds_read2_b32 v[62:63], v118 offset0:80 offset1:205
	ds_read2_b32 v[64:65], v139 offset0:62 offset1:187
	ds_read2_b32 v[66:67], v106 offset0:44 offset1:169
	s_movk_i32 s15, 0x4a
	s_waitcnt vmcnt(1)
	v_mul_f16_sdwa v24, v18, v0 dst_sel:DWORD dst_unused:UNUSED_PAD src0_sel:DWORD src1_sel:WORD_1
	v_fma_f16 v44, v16, v0, -v24
	v_mul_f16_sdwa v16, v16, v0 dst_sel:DWORD dst_unused:UNUSED_PAD src0_sel:DWORD src1_sel:WORD_1
	v_fma_f16 v41, v18, v0, v16
	v_mul_f16_sdwa v16, v19, v1 dst_sel:DWORD dst_unused:UNUSED_PAD src0_sel:DWORD src1_sel:WORD_1
	v_fma_f16 v46, v14, v1, -v16
	v_mul_f16_sdwa v14, v14, v1 dst_sel:DWORD dst_unused:UNUSED_PAD src0_sel:DWORD src1_sel:WORD_1
	v_fma_f16 v42, v19, v1, v14
	;; [unrolled: 4-line block ×4, first 2 shown]
	v_mul_u32_u24_sdwa v10, v82, s13 dst_sel:DWORD dst_unused:UNUSED_PAD src0_sel:WORD_0 src1_sel:DWORD
	v_lshrrev_b32_e32 v24, 17, v10
	v_mul_lo_u16_e32 v10, 3, v24
	v_sub_u16_e32 v25, v82, v10
	v_lshlrev_b16_e32 v10, 2, v25
	v_lshlrev_b32_e32 v22, 2, v10
	v_mul_u32_u24_sdwa v10, v55, s13 dst_sel:DWORD dst_unused:UNUSED_PAD src0_sel:WORD_0 src1_sel:DWORD
	v_lshrrev_b32_e32 v18, 17, v10
	v_mul_lo_u16_e32 v10, 3, v18
	v_sub_f16_e32 v28, v44, v46
	v_sub_f16_e32 v29, v69, v68
	v_sub_u16_e32 v19, v55, v10
	v_add_f16_e32 v14, v8, v44
	v_add_f16_e32 v73, v28, v29
	;; [unrolled: 1-line block ×3, first 2 shown]
	v_lshlrev_b16_e32 v10, 2, v19
	v_add_f16_e32 v14, v14, v46
	v_add_f16_e32 v16, v46, v68
	;; [unrolled: 1-line block ×4, first 2 shown]
	v_lshlrev_b32_e32 v23, 2, v10
	v_mul_u32_u24_sdwa v10, v81, s13 dst_sel:DWORD dst_unused:UNUSED_PAD src0_sel:WORD_0 src1_sel:DWORD
	v_add_f16_e32 v14, v14, v68
	v_fma_f16 v70, v16, -0.5, v8
	v_sub_f16_e32 v71, v41, v45
	v_add_f16_e32 v28, v28, v43
	v_fma_f16 v74, v29, -0.5, v40
	v_sub_f16_e32 v76, v44, v69
	v_lshrrev_b32_e32 v10, 17, v10
	v_add_f16_e32 v14, v14, v69
	v_fma_f16 v16, v71, s0, v70
	v_sub_f16_e32 v72, v42, v43
	v_add_f16_e32 v28, v28, v45
	v_sub_f16_e32 v29, v41, v42
	v_sub_f16_e32 v30, v45, v43
	v_fma_f16 v20, v76, s12, v74
	v_sub_f16_e32 v78, v46, v68
	v_mul_lo_u16_e32 v12, 3, v10
	v_fma_f16 v16, v72, s7, v16
	v_add_f16_e32 v75, v29, v30
	v_pack_b32_f16 v77, v14, v28
	v_fma_f16 v14, v78, s6, v20
	v_sub_u16_e32 v12, v81, v12
	v_fma_f16 v16, v73, s1, v16
	v_fma_f16 v14, v75, s1, v14
	v_pack_b32_f16 v79, v16, v14
	v_lshlrev_b16_e32 v14, 2, v12
	v_lshlrev_b32_e32 v20, 2, v14
	v_mul_u32_u24_sdwa v14, v80, s13 dst_sel:DWORD dst_unused:UNUSED_PAD src0_sel:WORD_0 src1_sel:DWORD
	v_lshrrev_b32_e32 v14, 17, v14
	v_mul_lo_u16_e32 v16, 3, v14
	v_sub_u16_e32 v16, v80, v16
	v_lshlrev_b16_e32 v21, 2, v16
	v_lshlrev_b32_e32 v21, 2, v21
	global_load_dwordx4 v[36:39], v22, s[2:3]
	global_load_dwordx4 v[32:35], v23, s[2:3]
	;; [unrolled: 1-line block ×3, first 2 shown]
	s_nop 0
	global_load_dwordx4 v[20:23], v21, s[2:3]
	v_sub_f16_e32 v46, v46, v44
	v_add_f16_e32 v44, v44, v69
	v_fma_f16 v8, v44, -0.5, v8
	v_sub_f16_e32 v68, v68, v69
	v_fma_f16 v44, v72, s12, v8
	v_fma_f16 v8, v72, s0, v8
	v_add_f16_e32 v46, v46, v68
	v_fma_f16 v44, v71, s7, v44
	v_fma_f16 v8, v71, s6, v8
	;; [unrolled: 1-line block ×4, first 2 shown]
	v_add_f16_e32 v46, v41, v45
	v_fma_f16 v40, v46, -0.5, v40
	v_sub_f16_e32 v41, v42, v41
	v_sub_f16_e32 v42, v43, v45
	v_add_f16_e32 v41, v41, v42
	v_fma_f16 v42, v78, s0, v40
	v_fma_f16 v40, v78, s12, v40
	v_fma_f16 v42, v76, s6, v42
	v_fma_f16 v40, v76, s7, v40
	v_fma_f16 v42, v41, s1, v42
	v_fma_f16 v40, v41, s1, v40
	v_pack_b32_f16 v41, v44, v42
	v_pack_b32_f16 v8, v8, v40
	s_waitcnt vmcnt(0) lgkmcnt(0)
	s_barrier
	ds_write2_b32 v155, v41, v8 offset0:6 offset1:9
	v_lshrrev_b32_e32 v8, 16, v17
	v_mul_f16_sdwa v40, v8, v4 dst_sel:DWORD dst_unused:UNUSED_PAD src0_sel:DWORD src1_sel:WORD_1
	v_fma_f16 v40, v17, v4, -v40
	v_mul_f16_sdwa v17, v17, v4 dst_sel:DWORD dst_unused:UNUSED_PAD src0_sel:DWORD src1_sel:WORD_1
	v_fma_f16 v8, v8, v4, v17
	v_lshrrev_b32_e32 v17, 16, v15
	v_mul_f16_sdwa v41, v17, v5 dst_sel:DWORD dst_unused:UNUSED_PAD src0_sel:DWORD src1_sel:WORD_1
	v_fma_f16 v41, v15, v5, -v41
	v_mul_f16_sdwa v15, v15, v5 dst_sel:DWORD dst_unused:UNUSED_PAD src0_sel:DWORD src1_sel:WORD_1
	v_fma_f16 v15, v17, v5, v15
	;; [unrolled: 5-line block ×4, first 2 shown]
	v_fma_f16 v17, v71, s12, v70
	v_fma_f16 v44, v76, s0, v74
	;; [unrolled: 1-line block ×6, first 2 shown]
	v_pack_b32_f16 v17, v17, v44
	v_add_f16_e32 v45, v41, v42
	v_add_f16_e32 v46, v40, v43
	v_lshrrev_b32_e32 v68, 16, v9
	ds_write_b32 v155, v17 offset:48
	v_mul_u32_u24_e32 v17, 15, v26
	v_fma_f16 v45, v45, -0.5, v9
	v_fma_f16 v46, v46, -0.5, v9
	v_add_f16_e32 v9, v9, v40
	v_add_lshl_u32 v160, v17, v27, 2
	v_add_f16_e32 v17, v68, v8
	v_add_f16_e32 v9, v9, v41
	;; [unrolled: 1-line block ×3, first 2 shown]
	v_sub_f16_e32 v69, v40, v41
	v_sub_f16_e32 v70, v43, v42
	v_add_f16_e32 v9, v9, v42
	v_add_f16_e32 v17, v17, v13
	;; [unrolled: 1-line block ×3, first 2 shown]
	v_sub_f16_e32 v70, v8, v15
	v_sub_f16_e32 v71, v11, v13
	v_add_f16_e32 v9, v9, v43
	v_add_f16_e32 v17, v17, v11
	;; [unrolled: 1-line block ×4, first 2 shown]
	v_pack_b32_f16 v9, v9, v17
	v_sub_f16_e32 v17, v8, v11
	v_fma_f16 v44, v44, -0.5, v68
	v_sub_f16_e32 v71, v40, v43
	v_fma_f16 v26, v17, s0, v45
	v_sub_f16_e32 v27, v15, v13
	v_fma_f16 v72, v71, s12, v44
	;; [unrolled: 2-line block ×3, first 2 shown]
	v_fma_f16 v72, v73, s6, v72
	v_fma_f16 v26, v69, s1, v26
	;; [unrolled: 1-line block ×3, first 2 shown]
	v_pack_b32_f16 v26, v26, v72
	ds_write2_b32 v155, v77, v79 offset1:3
	ds_write2_b32 v160, v9, v26 offset1:3
	v_sub_f16_e32 v9, v41, v40
	v_sub_f16_e32 v26, v42, v43
	v_add_f16_e32 v9, v9, v26
	v_fma_f16 v26, v27, s12, v46
	v_fma_f16 v40, v27, s0, v46
	;; [unrolled: 1-line block ×6, first 2 shown]
	v_add_f16_e32 v40, v8, v11
	v_fma_f16 v40, v40, -0.5, v68
	v_sub_f16_e32 v8, v15, v8
	v_sub_f16_e32 v11, v13, v11
	v_add_f16_e32 v8, v8, v11
	v_fma_f16 v11, v73, s0, v40
	v_fma_f16 v13, v73, s12, v40
	;; [unrolled: 1-line block ×6, first 2 shown]
	v_pack_b32_f16 v11, v26, v11
	v_pack_b32_f16 v8, v9, v8
	ds_write2_b32 v160, v11, v8 offset0:6 offset1:9
	v_fma_f16 v8, v17, s12, v45
	v_fma_f16 v9, v71, s0, v44
	v_fma_f16 v8, v27, s6, v8
	v_fma_f16 v9, v73, s7, v9
	v_fma_f16 v8, v69, s1, v8
	v_fma_f16 v9, v70, s1, v9
	v_lshrrev_b32_e32 v11, 16, v49
	v_mul_f16_sdwa v13, v49, v36 dst_sel:DWORD dst_unused:UNUSED_PAD src0_sel:DWORD src1_sel:WORD_1
	v_fma_f16 v13, v11, v36, v13
	v_mul_f16_sdwa v11, v11, v36 dst_sel:DWORD dst_unused:UNUSED_PAD src0_sel:DWORD src1_sel:WORD_1
	v_lshrrev_b32_e32 v15, 16, v51
	v_mul_f16_sdwa v17, v51, v37 dst_sel:DWORD dst_unused:UNUSED_PAD src0_sel:DWORD src1_sel:WORD_1
	v_pack_b32_f16 v8, v8, v9
	v_fma_f16 v11, v49, v36, -v11
	v_fma_f16 v17, v15, v37, v17
	v_mul_f16_sdwa v15, v15, v37 dst_sel:DWORD dst_unused:UNUSED_PAD src0_sel:DWORD src1_sel:WORD_1
	v_lshrrev_b32_e32 v26, 16, v53
	v_mul_f16_sdwa v27, v53, v38 dst_sel:DWORD dst_unused:UNUSED_PAD src0_sel:DWORD src1_sel:WORD_1
	ds_write_b32 v160, v8 offset:48
	v_mad_legacy_u16 v8, v24, 15, v25
	v_lshrrev_b32_e32 v24, 16, v47
	v_fma_f16 v15, v51, v37, -v15
	v_fma_f16 v27, v26, v38, v27
	v_mul_f16_sdwa v26, v26, v38 dst_sel:DWORD dst_unused:UNUSED_PAD src0_sel:DWORD src1_sel:WORD_1
	v_lshrrev_b32_e32 v40, 16, v56
	v_mul_f16_sdwa v41, v56, v39 dst_sel:DWORD dst_unused:UNUSED_PAD src0_sel:DWORD src1_sel:WORD_1
	v_add_f16_e32 v9, v47, v11
	v_add_f16_e32 v25, v24, v13
	v_fma_f16 v26, v53, v38, -v26
	v_fma_f16 v41, v40, v39, v41
	v_mul_f16_sdwa v40, v40, v39 dst_sel:DWORD dst_unused:UNUSED_PAD src0_sel:DWORD src1_sel:WORD_1
	v_add_f16_e32 v9, v9, v15
	v_add_f16_e32 v25, v25, v17
	v_fma_f16 v40, v56, v39, -v40
	v_add_f16_e32 v9, v9, v26
	v_add_f16_e32 v25, v25, v27
	v_sub_f16_e32 v42, v11, v15
	v_sub_f16_e32 v43, v40, v26
	v_add_f16_e32 v9, v9, v40
	v_add_f16_e32 v25, v25, v41
	;; [unrolled: 1-line block ×3, first 2 shown]
	v_sub_f16_e32 v43, v13, v17
	v_sub_f16_e32 v44, v41, v27
	v_pack_b32_f16 v9, v9, v25
	v_add_f16_e32 v25, v15, v26
	v_add_f16_e32 v49, v17, v27
	v_add_f16_e32 v43, v43, v44
	v_fma_f16 v25, v25, -0.5, v47
	v_sub_f16_e32 v44, v13, v41
	v_fma_f16 v49, v49, -0.5, v24
	v_sub_f16_e32 v51, v11, v40
	v_fma_f16 v45, v44, s0, v25
	v_sub_f16_e32 v46, v17, v27
	v_fma_f16 v53, v51, s12, v49
	;; [unrolled: 2-line block ×3, first 2 shown]
	v_fma_f16 v53, v56, s6, v53
	v_fma_f16 v45, v42, s1, v45
	;; [unrolled: 1-line block ×3, first 2 shown]
	v_pack_b32_f16 v45, v45, v53
	v_lshlrev_b32_e32 v170, 2, v8
	ds_write2_b32 v170, v9, v45 offset1:3
	v_add_f16_e32 v9, v11, v40
	v_sub_f16_e32 v8, v15, v11
	v_sub_f16_e32 v11, v26, v40
	v_fma_f16 v9, v9, -0.5, v47
	v_add_f16_e32 v8, v8, v11
	v_fma_f16 v11, v46, s12, v9
	v_fma_f16 v9, v46, s0, v9
	;; [unrolled: 1-line block ×6, first 2 shown]
	v_add_f16_e32 v9, v13, v41
	v_fma_f16 v9, v9, -0.5, v24
	v_sub_f16_e32 v13, v17, v13
	v_sub_f16_e32 v15, v27, v41
	v_add_f16_e32 v13, v13, v15
	v_fma_f16 v15, v56, s0, v9
	v_fma_f16 v9, v56, s12, v9
	;; [unrolled: 1-line block ×6, first 2 shown]
	v_pack_b32_f16 v11, v11, v15
	v_pack_b32_f16 v8, v8, v9
	ds_write2_b32 v170, v11, v8 offset0:6 offset1:9
	v_lshrrev_b32_e32 v8, 16, v50
	v_mul_f16_sdwa v11, v50, v32 dst_sel:DWORD dst_unused:UNUSED_PAD src0_sel:DWORD src1_sel:WORD_1
	v_mul_f16_sdwa v9, v8, v32 dst_sel:DWORD dst_unused:UNUSED_PAD src0_sel:DWORD src1_sel:WORD_1
	v_fma_f16 v8, v8, v32, v11
	v_lshrrev_b32_e32 v11, 16, v52
	v_mul_f16_sdwa v15, v52, v33 dst_sel:DWORD dst_unused:UNUSED_PAD src0_sel:DWORD src1_sel:WORD_1
	v_mul_f16_sdwa v13, v11, v33 dst_sel:DWORD dst_unused:UNUSED_PAD src0_sel:DWORD src1_sel:WORD_1
	v_fma_f16 v11, v11, v33, v15
	;; [unrolled: 4-line block ×4, first 2 shown]
	v_fma_f16 v25, v44, s12, v25
	v_fma_f16 v27, v51, s0, v49
	;; [unrolled: 1-line block ×6, first 2 shown]
	v_fma_f16 v9, v50, v32, -v9
	v_lshrrev_b32_e32 v42, 16, v48
	v_pack_b32_f16 v25, v25, v27
	v_fma_f16 v13, v52, v33, -v13
	v_add_f16_e32 v43, v48, v9
	ds_write_b32 v170, v25 offset:48
	v_add_f16_e32 v25, v42, v8
	v_fma_f16 v17, v54, v34, -v17
	v_fma_f16 v26, v57, v35, -v26
	v_mad_legacy_u16 v18, v18, 15, v19
	v_add_f16_e32 v19, v43, v13
	v_add_f16_e32 v25, v25, v11
	;; [unrolled: 1-line block ×6, first 2 shown]
	v_fma_f16 v41, v41, -0.5, v48
	v_sub_f16_e32 v44, v9, v13
	v_add_f16_e32 v19, v19, v26
	v_add_f16_e32 v25, v25, v24
	v_sub_f16_e32 v43, v11, v15
	v_sub_f16_e32 v47, v9, v26
	;; [unrolled: 1-line block ×6, first 2 shown]
	v_pack_b32_f16 v19, v19, v25
	v_sub_f16_e32 v25, v8, v24
	v_add_f16_e32 v9, v9, v13
	v_fma_f16 v13, v43, s12, v41
	v_fma_f16 v17, v43, s0, v41
	v_add_f16_e32 v44, v44, v45
	v_sub_f16_e32 v45, v8, v11
	v_sub_f16_e32 v46, v24, v15
	v_fma_f16 v13, v25, s7, v13
	v_fma_f16 v17, v25, s6, v17
	v_add_f16_e32 v45, v45, v46
	v_add_f16_e32 v46, v11, v15
	v_fma_f16 v13, v9, s1, v13
	v_fma_f16 v9, v9, s1, v17
	v_add_f16_e32 v17, v8, v24
	v_fma_f16 v40, v40, -0.5, v48
	v_fma_f16 v46, v46, -0.5, v42
	;; [unrolled: 1-line block ×3, first 2 shown]
	v_sub_f16_e32 v8, v11, v8
	v_sub_f16_e32 v11, v15, v24
	v_fma_f16 v27, v25, s0, v40
	v_fma_f16 v48, v47, s12, v46
	v_add_f16_e32 v8, v8, v11
	v_fma_f16 v11, v49, s0, v17
	v_fma_f16 v15, v49, s12, v17
	;; [unrolled: 1-line block ×10, first 2 shown]
	v_pack_b32_f16 v27, v27, v48
	v_lshlrev_b32_e32 v172, 2, v18
	v_pack_b32_f16 v11, v13, v11
	v_pack_b32_f16 v8, v9, v8
	ds_write2_b32 v172, v19, v27 offset1:3
	ds_write2_b32 v172, v11, v8 offset0:6 offset1:9
	v_lshrrev_b32_e32 v11, 16, v61
	v_mul_f16_sdwa v15, v61, v20 dst_sel:DWORD dst_unused:UNUSED_PAD src0_sel:DWORD src1_sel:WORD_1
	v_lshrrev_b32_e32 v18, 16, v63
	v_mul_f16_sdwa v24, v63, v21 dst_sel:DWORD dst_unused:UNUSED_PAD src0_sel:DWORD src1_sel:WORD_1
	v_lshrrev_b32_e32 v27, 16, v65
	v_mul_f16_sdwa v42, v65, v22 dst_sel:DWORD dst_unused:UNUSED_PAD src0_sel:DWORD src1_sel:WORD_1
	v_lshrrev_b32_e32 v8, 16, v60
	v_mul_f16_sdwa v9, v60, v28 dst_sel:DWORD dst_unused:UNUSED_PAD src0_sel:DWORD src1_sel:WORD_1
	v_mul_f16_sdwa v13, v11, v20 dst_sel:DWORD dst_unused:UNUSED_PAD src0_sel:DWORD src1_sel:WORD_1
	v_fma_f16 v11, v11, v20, v15
	v_lshrrev_b32_e32 v15, 16, v62
	v_mul_f16_sdwa v17, v62, v29 dst_sel:DWORD dst_unused:UNUSED_PAD src0_sel:DWORD src1_sel:WORD_1
	v_mul_f16_sdwa v19, v18, v21 dst_sel:DWORD dst_unused:UNUSED_PAD src0_sel:DWORD src1_sel:WORD_1
	v_fma_f16 v18, v18, v21, v24
	v_lshrrev_b32_e32 v24, 16, v64
	v_mul_f16_sdwa v26, v64, v30 dst_sel:DWORD dst_unused:UNUSED_PAD src0_sel:DWORD src1_sel:WORD_1
	;; [unrolled: 4-line block ×3, first 2 shown]
	v_fma_f16 v9, v8, v28, v9
	v_mul_f16_sdwa v8, v8, v28 dst_sel:DWORD dst_unused:UNUSED_PAD src0_sel:DWORD src1_sel:WORD_1
	v_fma_f16 v17, v15, v29, v17
	v_mul_f16_sdwa v15, v15, v29 dst_sel:DWORD dst_unused:UNUSED_PAD src0_sel:DWORD src1_sel:WORD_1
	;; [unrolled: 2-line block ×4, first 2 shown]
	v_fma_f16 v25, v25, s12, v40
	v_fma_f16 v8, v60, v28, -v8
	v_fma_f16 v15, v62, v29, -v15
	;; [unrolled: 1-line block ×4, first 2 shown]
	v_fma_f16 v25, v43, s6, v25
	v_fma_f16 v25, v44, s1, v25
	;; [unrolled: 1-line block ×3, first 2 shown]
	v_sub_f16_e32 v43, v8, v15
	v_sub_f16_e32 v44, v42, v24
	v_fma_f16 v40, v49, s7, v40
	v_add_f16_e32 v43, v43, v44
	v_add_f16_e32 v44, v15, v24
	v_fma_f16 v40, v45, s1, v40
	v_fma_f16 v44, v44, -0.5, v58
	v_sub_f16_e32 v45, v9, v48
	v_fma_f16 v46, v45, s0, v44
	v_sub_f16_e32 v47, v17, v26
	v_fma_f16 v44, v45, s12, v44
	v_fma_f16 v46, v47, s7, v46
	;; [unrolled: 1-line block ×5, first 2 shown]
	v_sub_f16_e32 v44, v15, v8
	v_sub_f16_e32 v49, v24, v42
	v_add_f16_e32 v44, v44, v49
	v_add_f16_e32 v49, v8, v42
	v_lshrrev_b32_e32 v50, 16, v67
	v_mul_f16_sdwa v52, v67, v23 dst_sel:DWORD dst_unused:UNUSED_PAD src0_sel:DWORD src1_sel:WORD_1
	v_fma_f16 v49, v49, -0.5, v58
	v_mul_f16_sdwa v51, v50, v23 dst_sel:DWORD dst_unused:UNUSED_PAD src0_sel:DWORD src1_sel:WORD_1
	v_fma_f16 v50, v50, v23, v52
	v_fma_f16 v52, v47, s12, v49
	;; [unrolled: 1-line block ×7, first 2 shown]
	v_add_f16_e32 v45, v58, v8
	v_add_f16_e32 v45, v45, v15
	v_add_f16_e32 v45, v45, v24
	v_add_f16_e32 v45, v45, v42
	v_sub_f16_e32 v8, v8, v42
	v_sub_f16_e32 v15, v15, v24
	;; [unrolled: 1-line block ×4, first 2 shown]
	v_add_f16_e32 v24, v24, v42
	v_lshrrev_b32_e32 v42, 16, v58
	v_add_f16_e32 v49, v17, v26
	v_fma_f16 v49, v49, -0.5, v42
	v_fma_f16 v52, v8, s12, v49
	v_fma_f16 v49, v8, s0, v49
	;; [unrolled: 1-line block ×6, first 2 shown]
	v_add_f16_e32 v49, v9, v48
	v_fma_f16 v49, v49, -0.5, v42
	v_add_f16_e32 v42, v42, v9
	v_add_f16_e32 v42, v42, v17
	v_sub_f16_e32 v9, v17, v9
	v_add_f16_e32 v17, v42, v26
	v_sub_f16_e32 v26, v26, v48
	v_add_f16_e32 v9, v9, v26
	v_fma_f16 v26, v15, s0, v49
	v_fma_f16 v15, v15, s12, v49
	v_fma_f16 v13, v61, v20, -v13
	v_fma_f16 v19, v63, v21, -v19
	;; [unrolled: 1-line block ×4, first 2 shown]
	v_fma_f16 v26, v8, s6, v26
	v_fma_f16 v8, v8, s7, v15
	;; [unrolled: 1-line block ×4, first 2 shown]
	v_add_f16_e32 v9, v19, v41
	v_sub_f16_e32 v49, v13, v19
	v_sub_f16_e32 v53, v51, v41
	v_fma_f16 v9, v9, -0.5, v59
	v_add_f16_e32 v49, v49, v53
	v_sub_f16_e32 v53, v11, v50
	v_fma_f16 v54, v53, s0, v9
	v_sub_f16_e32 v56, v18, v27
	v_fma_f16 v9, v53, s12, v9
	v_add_f16_e32 v26, v13, v51
	v_fma_f16 v54, v56, s7, v54
	v_fma_f16 v9, v56, s6, v9
	v_fma_f16 v26, v26, -0.5, v59
	v_fma_f16 v54, v49, s1, v54
	v_fma_f16 v9, v49, s1, v9
	v_sub_f16_e32 v49, v19, v13
	v_sub_f16_e32 v57, v41, v51
	v_add_f16_e32 v17, v17, v48
	v_add_f16_e32 v48, v59, v13
	;; [unrolled: 1-line block ×3, first 2 shown]
	v_fma_f16 v57, v56, s12, v26
	v_fma_f16 v26, v56, s0, v26
	;; [unrolled: 1-line block ×4, first 2 shown]
	v_add_f16_e32 v48, v48, v19
	v_fma_f16 v53, v49, s1, v56
	v_fma_f16 v26, v49, s1, v26
	v_add_f16_e32 v48, v48, v41
	v_sub_f16_e32 v19, v19, v41
	v_sub_f16_e32 v41, v11, v18
	;; [unrolled: 1-line block ×3, first 2 shown]
	v_lshrrev_b32_e32 v42, 16, v59
	v_add_f16_e32 v41, v41, v49
	v_add_f16_e32 v49, v18, v27
	v_sub_f16_e32 v13, v13, v51
	v_fma_f16 v49, v49, -0.5, v42
	v_add_f16_e32 v48, v48, v51
	v_fma_f16 v51, v13, s12, v49
	v_fma_f16 v49, v13, s0, v49
	;; [unrolled: 1-line block ×6, first 2 shown]
	v_add_f16_e32 v49, v11, v50
	v_fma_f16 v49, v49, -0.5, v42
	v_add_f16_e32 v42, v42, v11
	v_add_f16_e32 v42, v42, v18
	v_sub_f16_e32 v11, v18, v11
	v_add_f16_e32 v18, v42, v27
	v_sub_f16_e32 v27, v27, v50
	v_add_f16_e32 v11, v11, v27
	v_fma_f16 v27, v19, s0, v49
	v_fma_f16 v19, v19, s12, v49
	v_fma_f16 v27, v13, s6, v27
	v_fma_f16 v13, v13, s7, v19
	v_mad_legacy_u16 v10, v10, 15, v12
	v_fma_f16 v19, v11, s1, v27
	v_fma_f16 v11, v11, s1, v13
	v_pack_b32_f16 v13, v25, v40
	v_lshlrev_b32_e32 v180, 2, v10
	v_pack_b32_f16 v10, v47, v15
	v_pack_b32_f16 v8, v44, v8
	ds_write_b32 v172, v13 offset:48
	ds_write2_b32 v180, v10, v8 offset0:6 offset1:9
	v_pack_b32_f16 v8, v43, v24
	v_add_f16_e32 v18, v18, v50
	ds_write_b32 v180, v8 offset:48
	v_mad_legacy_u16 v8, v14, 15, v16
	v_pack_b32_f16 v12, v45, v17
	v_pack_b32_f16 v13, v46, v52
	v_lshlrev_b32_e32 v181, 2, v8
	v_pack_b32_f16 v8, v48, v18
	v_pack_b32_f16 v10, v54, v51
	ds_write2_b32 v180, v12, v13 offset1:3
	ds_write2_b32 v181, v8, v10 offset1:3
	v_pack_b32_f16 v8, v53, v19
	v_pack_b32_f16 v10, v26, v11
	ds_write2_b32 v181, v8, v10 offset0:6 offset1:9
	v_pack_b32_f16 v8, v9, v41
	s_movk_i32 s13, 0x89
	ds_write_b32 v181, v8 offset:48
	v_mul_lo_u16_sdwa v8, v137, s13 dst_sel:DWORD dst_unused:UNUSED_PAD src0_sel:BYTE_0 src1_sel:DWORD
	v_lshrrev_b16_e32 v47, 11, v8
	v_mul_lo_u16_e32 v8, 15, v47
	v_sub_u16_e32 v8, v137, v8
	v_and_b32_e32 v48, 0xff, v8
	v_lshlrev_b32_e32 v8, 4, v48
	s_waitcnt lgkmcnt(0)
	s_barrier
	global_load_dwordx4 v[24:27], v8, s[2:3] offset:48
	v_mul_lo_u16_sdwa v13, v83, s13 dst_sel:DWORD dst_unused:UNUSED_PAD src0_sel:BYTE_0 src1_sel:DWORD
	v_lshrrev_b16_e32 v40, 11, v13
	ds_read2_b32 v[10:11], v119 offset0:110 offset1:235
	ds_read2_b32 v[8:9], v141 offset0:92 offset1:217
	v_mul_lo_u16_e32 v13, 15, v40
	v_sub_u16_e32 v13, v83, v13
	v_and_b32_e32 v41, 0xff, v13
	v_lshlrev_b32_e32 v13, 4, v41
	s_waitcnt lgkmcnt(1)
	v_lshrrev_b32_e32 v12, 16, v10
	global_load_dwordx4 v[16:19], v13, s[2:3] offset:48
	s_waitcnt lgkmcnt(0)
	v_lshrrev_b32_e32 v14, 16, v8
	s_mov_b32 s13, 0x8889
	v_mul_u32_u24_sdwa v53, v81, s13 dst_sel:DWORD dst_unused:UNUSED_PAD src0_sel:WORD_0 src1_sel:DWORD
	v_lshrrev_b32_e32 v189, 19, v53
	v_mul_lo_u16_e32 v53, 15, v189
	v_mul_u32_u24_sdwa v56, v80, s13 dst_sel:DWORD dst_unused:UNUSED_PAD src0_sel:WORD_0 src1_sel:DWORD
	v_sub_u16_e32 v190, v81, v53
	v_lshrrev_b32_e32 v191, 19, v56
	v_lshlrev_b16_e32 v53, 4, v190
	v_mul_lo_u16_e32 v56, 15, v191
	v_sub_u16_e32 v192, v80, v56
	v_lshlrev_b16_e32 v56, 4, v192
	v_lshlrev_b32_e32 v80, 4, v80
	s_waitcnt vmcnt(1)
	v_mul_f16_sdwa v13, v10, v24 dst_sel:DWORD dst_unused:UNUSED_PAD src0_sel:DWORD src1_sel:WORD_1
	v_fma_f16 v42, v12, v24, v13
	v_mul_f16_sdwa v12, v12, v24 dst_sel:DWORD dst_unused:UNUSED_PAD src0_sel:DWORD src1_sel:WORD_1
	v_fma_f16 v43, v10, v24, -v12
	ds_read2_b32 v[12:13], v109 offset0:74 offset1:199
	v_mul_f16_sdwa v10, v8, v25 dst_sel:DWORD dst_unused:UNUSED_PAD src0_sel:DWORD src1_sel:WORD_1
	v_fma_f16 v10, v14, v25, v10
	v_mul_f16_sdwa v14, v14, v25 dst_sel:DWORD dst_unused:UNUSED_PAD src0_sel:DWORD src1_sel:WORD_1
	v_fma_f16 v45, v8, v25, -v14
	ds_read2_b32 v[14:15], v126 offset0:56 offset1:181
	s_waitcnt lgkmcnt(1)
	v_lshrrev_b32_e32 v8, 16, v12
	v_mul_f16_sdwa v44, v12, v26 dst_sel:DWORD dst_unused:UNUSED_PAD src0_sel:DWORD src1_sel:WORD_1
	v_fma_f16 v44, v8, v26, v44
	v_mul_f16_sdwa v8, v8, v26 dst_sel:DWORD dst_unused:UNUSED_PAD src0_sel:DWORD src1_sel:WORD_1
	v_fma_f16 v46, v12, v26, -v8
	s_waitcnt lgkmcnt(0)
	v_lshrrev_b32_e32 v8, 16, v14
	v_mul_f16_sdwa v12, v14, v27 dst_sel:DWORD dst_unused:UNUSED_PAD src0_sel:DWORD src1_sel:WORD_1
	v_fma_f16 v12, v8, v27, v12
	v_mul_f16_sdwa v8, v8, v27 dst_sel:DWORD dst_unused:UNUSED_PAD src0_sel:DWORD src1_sel:WORD_1
	v_fma_f16 v14, v14, v27, -v8
	v_sub_f16_e32 v8, v43, v45
	v_sub_f16_e32 v49, v14, v46
	v_add_f16_e32 v159, v8, v49
	ds_read2_b32 v[49:50], v142 offset1:125
	v_sub_f16_e32 v8, v42, v10
	v_sub_f16_e32 v51, v12, v44
	v_add_f16_e32 v171, v8, v51
	v_mul_u32_u24_e32 v8, 0x4b, v47
	s_waitcnt lgkmcnt(0)
	v_lshrrev_b32_e32 v173, 16, v49
	v_add_lshl_u32 v179, v8, v48, 2
	v_add_f16_e32 v8, v49, v43
	v_add_f16_e32 v47, v173, v42
	v_add_f16_e32 v8, v8, v45
	v_add_f16_e32 v47, v47, v10
	v_add_f16_e32 v8, v8, v46
	v_add_f16_e32 v47, v47, v44
	v_add_f16_e32 v8, v8, v14
	v_add_f16_e32 v47, v47, v12
	v_pack_b32_f16 v174, v8, v47
	v_add_f16_e32 v8, v45, v46
	v_add_f16_e32 v47, v10, v44
	v_fma_f16 v175, v8, -0.5, v49
	v_sub_f16_e32 v176, v42, v12
	v_fma_f16 v178, v47, -0.5, v173
	v_sub_f16_e32 v182, v43, v14
	v_fma_f16 v8, v176, s0, v175
	v_sub_f16_e32 v177, v10, v44
	v_fma_f16 v47, v182, s12, v178
	;; [unrolled: 2-line block ×3, first 2 shown]
	v_fma_f16 v47, v183, s6, v47
	v_fma_f16 v8, v159, s1, v8
	;; [unrolled: 1-line block ×3, first 2 shown]
	v_pack_b32_f16 v184, v8, v47
	v_mul_u32_u24_sdwa v8, v82, s13 dst_sel:DWORD dst_unused:UNUSED_PAD src0_sel:WORD_0 src1_sel:DWORD
	v_lshrrev_b32_e32 v185, 19, v8
	v_mul_lo_u16_e32 v8, 15, v185
	v_mul_u32_u24_sdwa v51, v55, s13 dst_sel:DWORD dst_unused:UNUSED_PAD src0_sel:WORD_0 src1_sel:DWORD
	v_sub_u16_e32 v186, v82, v8
	v_lshrrev_b32_e32 v187, 19, v51
	v_lshlrev_b16_e32 v47, 4, v186
	v_mul_lo_u16_e32 v51, 15, v187
	v_mov_b32_e32 v8, s3
	v_add_co_u32_e32 v47, vcc, s2, v47
	v_sub_u16_e32 v188, v55, v51
	v_addc_co_u32_e32 v48, vcc, 0, v8, vcc
	v_lshlrev_b16_e32 v51, 4, v188
	v_add_co_u32_e32 v51, vcc, s2, v51
	v_addc_co_u32_e32 v52, vcc, 0, v8, vcc
	v_add_co_u32_e32 v53, vcc, s2, v53
	v_addc_co_u32_e32 v54, vcc, 0, v8, vcc
	;; [unrolled: 2-line block ×3, first 2 shown]
	ds_read2_b32 v[58:59], v138 offset0:122 offset1:247
	ds_read2_b32 v[68:69], v110 offset0:104 offset1:229
	;; [unrolled: 1-line block ×10, first 2 shown]
	global_load_dwordx4 v[76:79], v[47:48], off offset:48
	global_load_dwordx4 v[72:75], v[51:52], off offset:48
	;; [unrolled: 1-line block ×4, first 2 shown]
	v_sub_f16_e32 v45, v45, v43
	v_add_f16_e32 v43, v43, v14
	v_sub_f16_e32 v14, v46, v14
	v_fma_f16 v43, v43, -0.5, v49
	v_add_f16_e32 v14, v45, v14
	v_fma_f16 v45, v177, s12, v43
	v_fma_f16 v43, v177, s0, v43
	;; [unrolled: 1-line block ×6, first 2 shown]
	v_add_f16_e32 v43, v42, v12
	v_fma_f16 v43, v43, -0.5, v173
	v_sub_f16_e32 v10, v10, v42
	v_sub_f16_e32 v12, v44, v12
	v_add_f16_e32 v10, v10, v12
	v_fma_f16 v12, v183, s0, v43
	v_fma_f16 v42, v183, s12, v43
	;; [unrolled: 1-line block ×6, first 2 shown]
	v_pack_b32_f16 v12, v45, v12
	v_pack_b32_f16 v10, v14, v10
	s_waitcnt vmcnt(0) lgkmcnt(0)
	s_barrier
	ds_write2_b32 v179, v12, v10 offset0:30 offset1:45
	v_lshrrev_b32_e32 v10, 16, v11
	v_mul_f16_sdwa v12, v10, v16 dst_sel:DWORD dst_unused:UNUSED_PAD src0_sel:DWORD src1_sel:WORD_1
	v_fma_f16 v12, v11, v16, -v12
	v_mul_f16_sdwa v11, v11, v16 dst_sel:DWORD dst_unused:UNUSED_PAD src0_sel:DWORD src1_sel:WORD_1
	v_fma_f16 v10, v10, v16, v11
	v_lshrrev_b32_e32 v11, 16, v9
	v_mul_f16_sdwa v14, v11, v17 dst_sel:DWORD dst_unused:UNUSED_PAD src0_sel:DWORD src1_sel:WORD_1
	v_fma_f16 v14, v9, v17, -v14
	v_mul_f16_sdwa v9, v9, v17 dst_sel:DWORD dst_unused:UNUSED_PAD src0_sel:DWORD src1_sel:WORD_1
	v_fma_f16 v9, v11, v17, v9
	;; [unrolled: 5-line block ×4, first 2 shown]
	v_fma_f16 v15, v176, s12, v175
	v_fma_f16 v44, v182, s0, v178
	;; [unrolled: 1-line block ×6, first 2 shown]
	v_lshrrev_b32_e32 v47, 16, v50
	v_pack_b32_f16 v15, v15, v44
	v_add_f16_e32 v48, v50, v12
	ds_write_b32 v179, v15 offset:240
	v_mul_u32_u24_e32 v15, 0x4b, v40
	v_add_f16_e32 v40, v47, v10
	v_add_f16_e32 v45, v14, v42
	;; [unrolled: 1-line block ×3, first 2 shown]
	v_add_lshl_u32 v182, v15, v41, 2
	v_add_f16_e32 v15, v48, v14
	v_add_f16_e32 v40, v40, v9
	v_fma_f16 v45, v45, -0.5, v50
	v_fma_f16 v46, v46, -0.5, v50
	v_sub_f16_e32 v49, v12, v14
	v_sub_f16_e32 v50, v43, v42
	v_add_f16_e32 v15, v15, v42
	v_add_f16_e32 v40, v40, v11
	;; [unrolled: 1-line block ×3, first 2 shown]
	v_sub_f16_e32 v50, v10, v9
	v_sub_f16_e32 v51, v13, v11
	v_add_f16_e32 v15, v15, v43
	v_add_f16_e32 v40, v40, v13
	;; [unrolled: 1-line block ×4, first 2 shown]
	v_pack_b32_f16 v15, v15, v40
	v_sub_f16_e32 v40, v10, v13
	v_fma_f16 v48, v48, -0.5, v47
	v_sub_f16_e32 v51, v12, v43
	v_fma_f16 v41, v40, s0, v45
	v_sub_f16_e32 v44, v9, v11
	v_fma_f16 v52, v51, s12, v48
	;; [unrolled: 2-line block ×3, first 2 shown]
	v_fma_f16 v52, v53, s6, v52
	v_fma_f16 v41, v49, s1, v41
	;; [unrolled: 1-line block ×3, first 2 shown]
	v_pack_b32_f16 v41, v41, v52
	v_sub_f16_e32 v12, v14, v12
	v_sub_f16_e32 v14, v42, v43
	ds_write2_b32 v179, v174, v184 offset1:15
	ds_write2_b32 v182, v15, v41 offset1:15
	v_add_f16_e32 v12, v12, v14
	v_fma_f16 v14, v44, s12, v46
	v_fma_f16 v15, v44, s0, v46
	;; [unrolled: 1-line block ×6, first 2 shown]
	v_add_f16_e32 v15, v10, v13
	v_fma_f16 v15, v15, -0.5, v47
	v_sub_f16_e32 v9, v9, v10
	v_sub_f16_e32 v10, v11, v13
	v_add_f16_e32 v9, v9, v10
	v_fma_f16 v10, v53, s0, v15
	v_fma_f16 v11, v53, s12, v15
	v_fma_f16 v10, v51, s6, v10
	v_fma_f16 v11, v51, s7, v11
	v_fma_f16 v10, v9, s1, v10
	v_fma_f16 v9, v9, s1, v11
	v_pack_b32_f16 v10, v14, v10
	v_pack_b32_f16 v9, v12, v9
	ds_write2_b32 v182, v10, v9 offset0:30 offset1:45
	v_fma_f16 v9, v40, s12, v45
	v_lshrrev_b32_e32 v11, 16, v68
	v_mul_f16_sdwa v12, v68, v76 dst_sel:DWORD dst_unused:UNUSED_PAD src0_sel:DWORD src1_sel:WORD_1
	v_lshrrev_b32_e32 v13, 16, v70
	v_mul_f16_sdwa v14, v70, v77 dst_sel:DWORD dst_unused:UNUSED_PAD src0_sel:DWORD src1_sel:WORD_1
	;; [unrolled: 2-line block ×4, first 2 shown]
	v_fma_f16 v12, v11, v76, v12
	v_mul_f16_sdwa v11, v11, v76 dst_sel:DWORD dst_unused:UNUSED_PAD src0_sel:DWORD src1_sel:WORD_1
	v_fma_f16 v14, v13, v77, v14
	v_mul_f16_sdwa v13, v13, v77 dst_sel:DWORD dst_unused:UNUSED_PAD src0_sel:DWORD src1_sel:WORD_1
	;; [unrolled: 2-line block ×4, first 2 shown]
	v_fma_f16 v11, v68, v76, -v11
	v_fma_f16 v13, v70, v77, -v13
	v_fma_f16 v15, v84, v78, -v15
	v_fma_f16 v41, v86, v79, -v41
	v_fma_f16 v9, v44, s6, v9
	v_fma_f16 v10, v51, s0, v48
	v_sub_f16_e32 v43, v11, v13
	v_sub_f16_e32 v44, v41, v15
	v_fma_f16 v10, v53, s7, v10
	v_add_f16_e32 v43, v43, v44
	v_sub_f16_e32 v44, v12, v14
	v_sub_f16_e32 v45, v42, v40
	v_fma_f16 v9, v49, s1, v9
	v_fma_f16 v10, v50, s1, v10
	v_add_f16_e32 v44, v44, v45
	v_lshrrev_b32_e32 v45, 16, v58
	v_pack_b32_f16 v9, v9, v10
	v_add_f16_e32 v10, v58, v11
	v_add_f16_e32 v46, v45, v12
	;; [unrolled: 1-line block ×8, first 2 shown]
	v_pack_b32_f16 v10, v10, v46
	v_add_f16_e32 v46, v13, v15
	v_add_f16_e32 v50, v14, v40
	v_fma_f16 v46, v46, -0.5, v58
	v_sub_f16_e32 v47, v12, v42
	v_fma_f16 v50, v50, -0.5, v45
	v_sub_f16_e32 v51, v11, v41
	v_fma_f16 v48, v47, s0, v46
	v_sub_f16_e32 v49, v14, v40
	v_fma_f16 v52, v51, s12, v50
	v_sub_f16_e32 v53, v13, v15
	s_movk_i32 s13, 0x4b
	v_fma_f16 v48, v49, s7, v48
	v_fma_f16 v52, v53, s6, v52
	ds_write_b32 v182, v9 offset:240
	v_mad_legacy_u16 v9, v185, s13, v186
	v_fma_f16 v48, v43, s1, v48
	v_fma_f16 v52, v44, s1, v52
	v_pack_b32_f16 v48, v48, v52
	v_lshlrev_b32_e32 v184, 2, v9
	ds_write2_b32 v184, v10, v48 offset1:15
	v_add_f16_e32 v10, v11, v41
	v_sub_f16_e32 v9, v13, v11
	v_sub_f16_e32 v11, v15, v41
	v_fma_f16 v10, v10, -0.5, v58
	v_add_f16_e32 v9, v9, v11
	v_fma_f16 v11, v49, s12, v10
	v_fma_f16 v10, v49, s0, v10
	;; [unrolled: 1-line block ×6, first 2 shown]
	v_add_f16_e32 v10, v12, v42
	v_fma_f16 v10, v10, -0.5, v45
	v_sub_f16_e32 v12, v14, v12
	v_sub_f16_e32 v13, v40, v42
	v_add_f16_e32 v12, v12, v13
	v_fma_f16 v13, v53, s0, v10
	v_fma_f16 v10, v53, s12, v10
	v_fma_f16 v13, v51, s6, v13
	v_fma_f16 v10, v51, s7, v10
	v_fma_f16 v13, v12, s1, v13
	v_fma_f16 v10, v12, s1, v10
	v_pack_b32_f16 v11, v11, v13
	v_pack_b32_f16 v9, v9, v10
	ds_write2_b32 v184, v11, v9 offset0:30 offset1:45
	v_lshrrev_b32_e32 v9, 16, v69
	v_mul_f16_sdwa v11, v69, v72 dst_sel:DWORD dst_unused:UNUSED_PAD src0_sel:DWORD src1_sel:WORD_1
	v_mul_f16_sdwa v10, v9, v72 dst_sel:DWORD dst_unused:UNUSED_PAD src0_sel:DWORD src1_sel:WORD_1
	v_fma_f16 v9, v9, v72, v11
	v_lshrrev_b32_e32 v11, 16, v71
	v_mul_f16_sdwa v13, v71, v73 dst_sel:DWORD dst_unused:UNUSED_PAD src0_sel:DWORD src1_sel:WORD_1
	v_mul_f16_sdwa v12, v11, v73 dst_sel:DWORD dst_unused:UNUSED_PAD src0_sel:DWORD src1_sel:WORD_1
	v_fma_f16 v11, v11, v73, v13
	;; [unrolled: 4-line block ×4, first 2 shown]
	v_fma_f16 v41, v47, s12, v46
	v_fma_f16 v42, v51, s0, v50
	v_fma_f16 v10, v69, v72, -v10
	v_fma_f16 v41, v49, s6, v41
	v_fma_f16 v42, v53, s7, v42
	v_fma_f16 v12, v71, v73, -v12
	v_fma_f16 v41, v43, s1, v41
	v_fma_f16 v42, v44, s1, v42
	v_lshrrev_b32_e32 v45, 16, v59
	v_add_f16_e32 v46, v59, v10
	v_pack_b32_f16 v41, v41, v42
	v_add_f16_e32 v42, v46, v12
	v_add_f16_e32 v46, v45, v9
	v_fma_f16 v14, v85, v74, -v14
	v_fma_f16 v40, v87, v75, -v40
	v_add_f16_e32 v46, v46, v11
	v_add_f16_e32 v44, v10, v40
	;; [unrolled: 1-line block ×5, first 2 shown]
	v_fma_f16 v44, v44, -0.5, v59
	v_sub_f16_e32 v47, v10, v12
	v_add_f16_e32 v42, v42, v40
	v_add_f16_e32 v46, v46, v15
	v_sub_f16_e32 v50, v11, v13
	v_sub_f16_e32 v52, v10, v40
	v_sub_f16_e32 v54, v12, v14
	v_sub_f16_e32 v10, v12, v10
	v_sub_f16_e32 v12, v14, v40
	v_sub_f16_e32 v48, v40, v14
	v_pack_b32_f16 v42, v42, v46
	v_sub_f16_e32 v46, v9, v15
	v_add_f16_e32 v10, v10, v12
	v_fma_f16 v12, v50, s12, v44
	v_fma_f16 v14, v50, s0, v44
	;; [unrolled: 1-line block ×4, first 2 shown]
	v_add_f16_e32 v51, v11, v13
	v_fma_f16 v12, v10, s1, v12
	v_fma_f16 v10, v10, s1, v14
	v_add_f16_e32 v14, v9, v15
	v_fma_f16 v43, v43, -0.5, v59
	v_add_f16_e32 v47, v47, v48
	v_sub_f16_e32 v48, v9, v11
	v_sub_f16_e32 v49, v15, v13
	v_fma_f16 v51, v51, -0.5, v45
	v_fma_f16 v14, v14, -0.5, v45
	v_sub_f16_e32 v9, v11, v9
	v_sub_f16_e32 v11, v13, v15
	v_add_f16_e32 v48, v48, v49
	v_fma_f16 v49, v46, s0, v43
	v_fma_f16 v53, v52, s12, v51
	v_add_f16_e32 v9, v9, v11
	v_fma_f16 v11, v54, s0, v14
	v_fma_f16 v13, v54, s12, v14
	;; [unrolled: 1-line block ×6, first 2 shown]
	ds_write_b32 v184, v41 offset:240
	v_mad_legacy_u16 v41, v187, s13, v188
	v_fma_f16 v49, v47, s1, v49
	v_fma_f16 v53, v48, s1, v53
	;; [unrolled: 1-line block ×4, first 2 shown]
	v_pack_b32_f16 v49, v49, v53
	v_lshlrev_b32_e32 v186, 2, v41
	v_pack_b32_f16 v11, v12, v11
	v_pack_b32_f16 v9, v10, v9
	ds_write2_b32 v186, v42, v49 offset1:15
	ds_write2_b32 v186, v11, v9 offset0:30 offset1:45
	v_lshrrev_b32_e32 v11, 16, v90
	v_mul_f16_sdwa v12, v90, v64 dst_sel:DWORD dst_unused:UNUSED_PAD src0_sel:DWORD src1_sel:WORD_1
	v_lshrrev_b32_e32 v13, 16, v92
	v_mul_f16_sdwa v14, v92, v65 dst_sel:DWORD dst_unused:UNUSED_PAD src0_sel:DWORD src1_sel:WORD_1
	v_lshrrev_b32_e32 v15, 16, v94
	v_mul_f16_sdwa v40, v94, v66 dst_sel:DWORD dst_unused:UNUSED_PAD src0_sel:DWORD src1_sel:WORD_1
	v_lshrrev_b32_e32 v41, 16, v157
	v_mul_f16_sdwa v42, v157, v67 dst_sel:DWORD dst_unused:UNUSED_PAD src0_sel:DWORD src1_sel:WORD_1
	v_fma_f16 v12, v11, v64, v12
	v_mul_f16_sdwa v11, v11, v64 dst_sel:DWORD dst_unused:UNUSED_PAD src0_sel:DWORD src1_sel:WORD_1
	v_fma_f16 v14, v13, v65, v14
	v_mul_f16_sdwa v13, v13, v65 dst_sel:DWORD dst_unused:UNUSED_PAD src0_sel:DWORD src1_sel:WORD_1
	;; [unrolled: 2-line block ×4, first 2 shown]
	v_fma_f16 v11, v90, v64, -v11
	v_fma_f16 v13, v92, v65, -v13
	;; [unrolled: 1-line block ×4, first 2 shown]
	v_fma_f16 v9, v46, s12, v43
	v_fma_f16 v10, v52, s0, v51
	v_sub_f16_e32 v43, v11, v13
	v_sub_f16_e32 v44, v41, v15
	v_fma_f16 v9, v50, s6, v9
	v_fma_f16 v10, v54, s7, v10
	v_add_f16_e32 v43, v43, v44
	v_sub_f16_e32 v44, v12, v14
	v_sub_f16_e32 v45, v42, v40
	v_fma_f16 v9, v47, s1, v9
	v_fma_f16 v10, v48, s1, v10
	v_add_f16_e32 v44, v44, v45
	v_lshrrev_b32_e32 v45, 16, v88
	v_pack_b32_f16 v9, v9, v10
	v_add_f16_e32 v10, v88, v11
	v_add_f16_e32 v46, v45, v12
	;; [unrolled: 1-line block ×8, first 2 shown]
	v_pack_b32_f16 v10, v10, v46
	v_add_f16_e32 v46, v13, v15
	v_add_f16_e32 v50, v14, v40
	v_fma_f16 v46, v46, -0.5, v88
	v_sub_f16_e32 v47, v12, v42
	v_fma_f16 v50, v50, -0.5, v45
	v_sub_f16_e32 v51, v11, v41
	v_fma_f16 v48, v47, s0, v46
	v_sub_f16_e32 v49, v14, v40
	v_fma_f16 v52, v51, s12, v50
	;; [unrolled: 2-line block ×3, first 2 shown]
	v_fma_f16 v52, v53, s6, v52
	ds_write_b32 v186, v9 offset:240
	v_mad_legacy_u16 v9, v189, s13, v190
	v_fma_f16 v48, v43, s1, v48
	v_fma_f16 v52, v44, s1, v52
	v_pack_b32_f16 v48, v48, v52
	v_lshlrev_b32_e32 v190, 2, v9
	ds_write2_b32 v190, v10, v48 offset1:15
	v_add_f16_e32 v10, v11, v41
	v_sub_f16_e32 v9, v13, v11
	v_sub_f16_e32 v11, v15, v41
	v_fma_f16 v10, v10, -0.5, v88
	v_add_f16_e32 v9, v9, v11
	v_fma_f16 v11, v49, s12, v10
	v_fma_f16 v10, v49, s0, v10
	;; [unrolled: 1-line block ×6, first 2 shown]
	v_add_f16_e32 v10, v12, v42
	v_fma_f16 v10, v10, -0.5, v45
	v_sub_f16_e32 v12, v14, v12
	v_sub_f16_e32 v13, v40, v42
	v_add_f16_e32 v12, v12, v13
	v_fma_f16 v13, v53, s0, v10
	v_fma_f16 v10, v53, s12, v10
	v_fma_f16 v13, v51, s6, v13
	v_fma_f16 v10, v51, s7, v10
	v_fma_f16 v13, v12, s1, v13
	v_fma_f16 v10, v12, s1, v10
	v_pack_b32_f16 v11, v11, v13
	v_pack_b32_f16 v9, v9, v10
	ds_write2_b32 v190, v11, v9 offset0:30 offset1:45
	v_lshrrev_b32_e32 v9, 16, v91
	v_mul_f16_sdwa v11, v91, v60 dst_sel:DWORD dst_unused:UNUSED_PAD src0_sel:DWORD src1_sel:WORD_1
	v_mul_f16_sdwa v10, v9, v60 dst_sel:DWORD dst_unused:UNUSED_PAD src0_sel:DWORD src1_sel:WORD_1
	v_fma_f16 v9, v9, v60, v11
	v_lshrrev_b32_e32 v11, 16, v93
	v_mul_f16_sdwa v13, v93, v61 dst_sel:DWORD dst_unused:UNUSED_PAD src0_sel:DWORD src1_sel:WORD_1
	v_mul_f16_sdwa v12, v11, v61 dst_sel:DWORD dst_unused:UNUSED_PAD src0_sel:DWORD src1_sel:WORD_1
	v_fma_f16 v11, v11, v61, v13
	v_lshrrev_b32_e32 v13, 16, v95
	v_mul_f16_sdwa v15, v95, v62 dst_sel:DWORD dst_unused:UNUSED_PAD src0_sel:DWORD src1_sel:WORD_1
	v_mul_f16_sdwa v14, v13, v62 dst_sel:DWORD dst_unused:UNUSED_PAD src0_sel:DWORD src1_sel:WORD_1
	v_fma_f16 v13, v13, v62, v15
	v_lshrrev_b32_e32 v15, 16, v158
	v_mul_f16_sdwa v41, v158, v63 dst_sel:DWORD dst_unused:UNUSED_PAD src0_sel:DWORD src1_sel:WORD_1
	v_mul_f16_sdwa v40, v15, v63 dst_sel:DWORD dst_unused:UNUSED_PAD src0_sel:DWORD src1_sel:WORD_1
	v_fma_f16 v15, v15, v63, v41
	v_fma_f16 v41, v47, s12, v46
	v_fma_f16 v42, v51, s0, v50
	v_fma_f16 v10, v91, v60, -v10
	v_fma_f16 v41, v49, s6, v41
	v_fma_f16 v42, v53, s7, v42
	v_fma_f16 v12, v93, v61, -v12
	v_fma_f16 v41, v43, s1, v41
	v_fma_f16 v42, v44, s1, v42
	v_lshrrev_b32_e32 v45, 16, v89
	v_add_f16_e32 v46, v89, v10
	v_pack_b32_f16 v41, v41, v42
	v_add_f16_e32 v42, v46, v12
	v_add_f16_e32 v46, v45, v9
	v_fma_f16 v14, v95, v62, -v14
	v_fma_f16 v40, v158, v63, -v40
	v_add_f16_e32 v46, v46, v11
	v_add_f16_e32 v44, v10, v40
	;; [unrolled: 1-line block ×5, first 2 shown]
	v_fma_f16 v44, v44, -0.5, v89
	v_sub_f16_e32 v47, v10, v12
	v_add_f16_e32 v42, v42, v40
	v_add_f16_e32 v46, v46, v15
	v_sub_f16_e32 v50, v11, v13
	v_sub_f16_e32 v52, v10, v40
	v_sub_f16_e32 v54, v12, v14
	v_sub_f16_e32 v10, v12, v10
	v_sub_f16_e32 v12, v14, v40
	v_sub_f16_e32 v48, v40, v14
	v_pack_b32_f16 v42, v42, v46
	v_sub_f16_e32 v46, v9, v15
	v_add_f16_e32 v10, v10, v12
	v_fma_f16 v12, v50, s12, v44
	v_fma_f16 v14, v50, s0, v44
	;; [unrolled: 1-line block ×6, first 2 shown]
	v_add_f16_e32 v14, v9, v15
	v_add_f16_e32 v47, v47, v48
	v_sub_f16_e32 v48, v9, v11
	v_add_f16_e32 v51, v11, v13
	v_fma_f16 v14, v14, -0.5, v45
	v_sub_f16_e32 v9, v11, v9
	v_sub_f16_e32 v11, v13, v15
	;; [unrolled: 1-line block ×3, first 2 shown]
	v_add_f16_e32 v9, v9, v11
	v_fma_f16 v11, v54, s0, v14
	v_fma_f16 v13, v54, s12, v14
	;; [unrolled: 1-line block ×4, first 2 shown]
	ds_write_b32 v190, v41 offset:240
	v_mad_legacy_u16 v41, v191, s13, v192
	v_fma_f16 v11, v9, s1, v11
	v_fma_f16 v9, v9, s1, v13
	v_fma_f16 v43, v43, -0.5, v89
	v_fma_f16 v51, v51, -0.5, v45
	v_lshlrev_b32_e32 v191, 2, v41
	v_pack_b32_f16 v11, v12, v11
	v_pack_b32_f16 v9, v10, v9
	ds_write2_b32 v191, v11, v9 offset0:30 offset1:45
	v_fma_f16 v9, v46, s12, v43
	v_fma_f16 v10, v52, s0, v51
	v_add_f16_e32 v48, v48, v49
	v_fma_f16 v9, v50, s6, v9
	v_fma_f16 v10, v54, s7, v10
	;; [unrolled: 1-line block ×4, first 2 shown]
	v_pack_b32_f16 v9, v9, v10
	ds_write_b32 v191, v9 offset:240
	v_add_u32_e32 v9, 0xffffffb5, v137
	v_cmp_gt_u16_e32 vcc, s13, v137
	v_fma_f16 v49, v46, s0, v43
	v_fma_f16 v53, v52, s12, v51
	v_cndmask_b32_e32 v84, v9, v137, vcc
	v_fma_f16 v49, v50, s7, v49
	v_fma_f16 v53, v54, s6, v53
	v_mul_i32_i24_e32 v9, 36, v84
	v_fma_f16 v49, v47, s1, v49
	v_fma_f16 v53, v48, s1, v53
	v_mul_hi_i32_i24_e32 v10, 36, v84
	v_add_co_u32_e32 v9, vcc, s2, v9
	v_pack_b32_f16 v49, v49, v53
	v_addc_co_u32_e32 v10, vcc, v8, v10, vcc
	ds_write2_b32 v191, v42, v49 offset1:15
	s_waitcnt lgkmcnt(0)
	s_barrier
	global_load_dwordx4 v[44:47], v[9:10], off offset:288
	global_load_dwordx4 v[40:43], v[9:10], off offset:304
	global_load_dword v183, v[9:10], off offset:320
	s_mov_b32 s13, 0xb4e9
	v_mul_u32_u24_sdwa v9, v82, s13 dst_sel:DWORD dst_unused:UNUSED_PAD src0_sel:WORD_0 src1_sel:DWORD
	v_sub_u16_sdwa v10, v82, v9 dst_sel:DWORD dst_unused:UNUSED_PAD src0_sel:DWORD src1_sel:WORD_1
	v_lshrrev_b16_e32 v10, 1, v10
	v_add_u16_sdwa v9, v10, v9 dst_sel:DWORD dst_unused:UNUSED_PAD src0_sel:DWORD src1_sel:WORD_1
	v_lshrrev_b16_e32 v173, 6, v9
	ds_read2_b32 v[49:50], v119 offset0:110 offset1:235
	v_mul_lo_u16_e32 v9, 0x4b, v173
	v_sub_u16_e32 v174, v82, v9
	ds_read2_b32 v[51:52], v141 offset0:92 offset1:217
	v_mul_lo_u16_e32 v9, 36, v174
	v_add_co_u32_e32 v70, vcc, s2, v9
	ds_read2_b32 v[53:54], v109 offset0:74 offset1:199
	v_addc_co_u32_e32 v71, vcc, 0, v8, vcc
	s_waitcnt lgkmcnt(2)
	v_lshrrev_b32_e32 v8, 16, v49
	ds_read2_b32 v[68:69], v126 offset0:56 offset1:181
	s_movk_i32 s13, 0xdb
	ds_read2_b32 v[198:199], v142 offset1:125
	v_cmp_lt_u16_e32 vcc, s15, v137
	s_movk_i32 s15, 0x2ee
	v_mad_legacy_u16 v173, v173, s15, v174
	v_lshlrev_b32_e32 v173, 2, v173
	s_waitcnt lgkmcnt(0)
	v_lshrrev_b32_e32 v220, 16, v198
	s_waitcnt vmcnt(2)
	v_mul_f16_sdwa v9, v49, v45 dst_sel:DWORD dst_unused:UNUSED_PAD src0_sel:DWORD src1_sel:WORD_1
	v_fma_f16 v157, v8, v45, v9
	v_mul_f16_sdwa v8, v8, v45 dst_sel:DWORD dst_unused:UNUSED_PAD src0_sel:DWORD src1_sel:WORD_1
	v_fma_f16 v159, v49, v45, -v8
	v_lshrrev_b32_e32 v8, 16, v51
	v_mul_f16_sdwa v9, v51, v47 dst_sel:DWORD dst_unused:UNUSED_PAD src0_sel:DWORD src1_sel:WORD_1
	v_fma_f16 v158, v8, v47, v9
	v_mul_f16_sdwa v8, v8, v47 dst_sel:DWORD dst_unused:UNUSED_PAD src0_sel:DWORD src1_sel:WORD_1
	v_fma_f16 v171, v51, v47, -v8
	v_lshrrev_b32_e32 v8, 16, v53
	s_waitcnt vmcnt(1)
	v_mul_f16_sdwa v9, v53, v41 dst_sel:DWORD dst_unused:UNUSED_PAD src0_sel:DWORD src1_sel:WORD_1
	v_fma_f16 v51, v8, v41, v9
	v_mul_f16_sdwa v8, v8, v41 dst_sel:DWORD dst_unused:UNUSED_PAD src0_sel:DWORD src1_sel:WORD_1
	v_fma_f16 v175, v53, v41, -v8
	v_lshrrev_b32_e32 v8, 16, v68
	v_mul_f16_sdwa v9, v68, v43 dst_sel:DWORD dst_unused:UNUSED_PAD src0_sel:DWORD src1_sel:WORD_1
	v_fma_f16 v53, v8, v43, v9
	v_mul_f16_sdwa v8, v8, v43 dst_sel:DWORD dst_unused:UNUSED_PAD src0_sel:DWORD src1_sel:WORD_1
	v_fma_f16 v68, v68, v43, -v8
	ds_read2_b32 v[8:9], v110 offset0:104 offset1:229
	v_sub_f16_e32 v10, v159, v171
	v_sub_f16_e32 v11, v68, v175
	v_add_f16_e32 v176, v10, v11
	v_sub_f16_e32 v10, v157, v158
	v_sub_f16_e32 v11, v53, v51
	v_add_f16_e32 v177, v10, v11
	ds_read2_b32 v[10:11], v128 offset0:86 offset1:211
	s_waitcnt lgkmcnt(1)
	v_lshrrev_b32_e32 v12, 16, v9
	v_mul_f16_sdwa v13, v9, v46 dst_sel:DWORD dst_unused:UNUSED_PAD src0_sel:DWORD src1_sel:WORD_1
	v_fma_f16 v178, v12, v46, v13
	v_mul_f16_sdwa v12, v12, v46 dst_sel:DWORD dst_unused:UNUSED_PAD src0_sel:DWORD src1_sel:WORD_1
	v_fma_f16 v192, v9, v46, -v12
	ds_read2_b32 v[12:13], v143 offset0:68 offset1:193
	s_waitcnt lgkmcnt(1)
	v_lshrrev_b32_e32 v9, 16, v11
	v_mul_f16_sdwa v14, v11, v40 dst_sel:DWORD dst_unused:UNUSED_PAD src0_sel:DWORD src1_sel:WORD_1
	v_fma_f16 v189, v9, v40, v14
	ds_read2_b32 v[14:15], v116 offset0:50 offset1:175
	v_mul_f16_sdwa v9, v9, v40 dst_sel:DWORD dst_unused:UNUSED_PAD src0_sel:DWORD src1_sel:WORD_1
	v_fma_f16 v194, v11, v40, -v9
	s_waitcnt lgkmcnt(1)
	v_lshrrev_b32_e32 v48, 16, v13
	v_mul_f16_sdwa v9, v13, v42 dst_sel:DWORD dst_unused:UNUSED_PAD src0_sel:DWORD src1_sel:WORD_1
	v_fma_f16 v193, v48, v42, v9
	v_mul_f16_sdwa v48, v48, v42 dst_sel:DWORD dst_unused:UNUSED_PAD src0_sel:DWORD src1_sel:WORD_1
	v_fma_f16 v195, v13, v42, -v48
	s_waitcnt lgkmcnt(0)
	v_lshrrev_b32_e32 v48, 16, v15
	s_waitcnt vmcnt(0)
	v_mul_f16_sdwa v13, v15, v183 dst_sel:DWORD dst_unused:UNUSED_PAD src0_sel:DWORD src1_sel:WORD_1
	v_fma_f16 v13, v48, v183, v13
	v_mul_f16_sdwa v48, v48, v183 dst_sel:DWORD dst_unused:UNUSED_PAD src0_sel:DWORD src1_sel:WORD_1
	v_fma_f16 v15, v15, v183, -v48
	ds_read2_b32 v[48:49], v138 offset0:122 offset1:247
	v_mul_lo_u16_sdwa v9, v83, s13 dst_sel:DWORD dst_unused:UNUSED_PAD src0_sel:BYTE_0 src1_sel:DWORD
	v_lshrrev_b16_e32 v9, 14, v9
	v_sub_f16_e32 v87, v192, v194
	v_sub_f16_e32 v88, v15, v195
	v_mul_lo_u16_e32 v11, 0x4b, v9
	v_add_f16_e32 v196, v87, v88
	v_sub_f16_e32 v87, v178, v189
	v_sub_f16_e32 v88, v13, v193
	v_sub_u16_e32 v11, v83, v11
	v_add_f16_e32 v197, v87, v88
	s_waitcnt lgkmcnt(0)
	v_lshrrev_b32_e32 v87, 16, v49
	v_mul_f16_sdwa v88, v49, v44 dst_sel:DWORD dst_unused:UNUSED_PAD src0_sel:DWORD src1_sel:WORD_1
	v_and_b32_e32 v11, 0xff, v11
	v_fma_f16 v210, v87, v44, v88
	v_mul_f16_sdwa v87, v87, v44 dst_sel:DWORD dst_unused:UNUSED_PAD src0_sel:DWORD src1_sel:WORD_1
	v_add_f16_e32 v88, v189, v193
	v_mad_u64_u32 v[85:86], s[16:17], v11, 36, s[2:3]
	v_fma_f16 v49, v49, v44, -v87
	v_add_f16_e32 v87, v194, v195
	v_fma_f16 v214, v88, -0.5, v210
	v_sub_f16_e32 v215, v192, v15
	v_fma_f16 v211, v87, -0.5, v49
	v_sub_f16_e32 v212, v178, v13
	v_fma_f16 v88, v215, s12, v214
	v_sub_f16_e32 v216, v194, v195
	v_fma_f16 v87, v212, s0, v211
	;; [unrolled: 2-line block ×3, first 2 shown]
	v_fma_f16 v87, v213, s7, v87
	v_fma_f16 v88, v197, s1, v88
	global_load_dwordx4 v[56:59], v[85:86], off offset:288
	v_fma_f16 v87, v196, s1, v87
	s_movk_i32 s13, 0x3a79
	v_mul_f16_e32 v89, 0x38b4, v88
	v_fma_f16 v217, v87, s13, v89
	v_mul_f16_e32 v87, 0xb8b4, v87
	v_fma_f16 v218, v88, s13, v87
	global_load_dword v185, v[70:71], off offset:320
	global_load_dword v188, v[85:86], off offset:320
	global_load_dwordx4 v[88:91], v[85:86], off offset:304
	v_mov_b32_e32 v87, 0x2ee
	v_cndmask_b32_e32 v87, 0, v87, vcc
	v_add_lshl_u32 v187, v84, v87, 2
	v_add_f16_e32 v84, v198, v159
	v_add_f16_e32 v84, v84, v171
	;; [unrolled: 1-line block ×18, first 2 shown]
	v_pack_b32_f16 v224, v84, v87
	v_add_f16_e32 v84, v171, v175
	v_fma_f16 v225, v84, -0.5, v198
	v_sub_f16_e32 v226, v157, v53
	v_fma_f16 v84, v226, s0, v225
	v_sub_f16_e32 v227, v158, v51
	v_fma_f16 v84, v227, s7, v84
	v_fma_f16 v228, v176, s1, v84
	v_add_f16_e32 v84, v158, v51
	v_fma_f16 v229, v84, -0.5, v220
	v_sub_f16_e32 v230, v159, v68
	v_fma_f16 v84, v230, s12, v229
	v_sub_f16_e32 v231, v171, v175
	v_fma_f16 v84, v231, s6, v84
	v_fma_f16 v232, v177, s1, v84
	v_add_f16_e32 v84, v228, v217
	v_add_f16_e32 v87, v232, v218
	v_pack_b32_f16 v233, v84, v87
	ds_read2_b32 v[200:201], v127 offset0:116 offset1:241
	ds_read2_b32 v[202:203], v145 offset0:98 offset1:223
	;; [unrolled: 1-line block ×5, first 2 shown]
	global_load_dwordx4 v[92:95], v[70:71], off offset:288
	global_load_dwordx4 v[84:87], v[70:71], off offset:304
	v_sub_f16_e32 v70, v171, v159
	v_add_f16_e32 v71, v159, v68
	v_sub_f16_e32 v68, v175, v68
	v_add_f16_e32 v68, v70, v68
	v_fma_f16 v70, v71, -0.5, v198
	v_fma_f16 v71, v227, s12, v70
	v_fma_f16 v70, v227, s0, v70
	;; [unrolled: 1-line block ×6, first 2 shown]
	v_add_f16_e32 v70, v157, v53
	v_fma_f16 v70, v70, -0.5, v220
	v_sub_f16_e32 v157, v158, v157
	v_sub_f16_e32 v51, v51, v53
	v_fma_f16 v53, v231, s0, v70
	v_fma_f16 v70, v231, s12, v70
	v_add_f16_e32 v51, v157, v51
	v_fma_f16 v53, v230, s6, v53
	v_fma_f16 v70, v230, s7, v70
	;; [unrolled: 1-line block ×4, first 2 shown]
	v_add_f16_e32 v70, v192, v15
	v_fma_f16 v49, v70, -0.5, v49
	v_sub_f16_e32 v70, v194, v192
	v_sub_f16_e32 v15, v195, v15
	v_add_f16_e32 v15, v70, v15
	v_fma_f16 v70, v213, s12, v49
	v_fma_f16 v49, v213, s0, v49
	;; [unrolled: 1-line block ×6, first 2 shown]
	v_add_f16_e32 v49, v178, v13
	v_fma_f16 v49, v49, -0.5, v210
	v_sub_f16_e32 v157, v189, v178
	v_sub_f16_e32 v13, v193, v13
	v_add_f16_e32 v13, v157, v13
	v_fma_f16 v157, v216, s0, v49
	v_fma_f16 v157, v215, s6, v157
	v_fma_f16 v49, v216, s12, v49
	v_fma_f16 v157, v13, s1, v157
	v_fma_f16 v49, v215, s7, v49
	v_fma_f16 v13, v13, s1, v49
	v_mul_f16_e32 v49, 0x3b9c, v157
	v_fma_f16 v49, v70, s1, v49
	v_mul_f16_e32 v70, 0xbb9c, v70
	v_fma_f16 v70, v157, s1, v70
	;; [unrolled: 2-line block ×4, first 2 shown]
	v_add_f16_e32 v15, v71, v49
	v_add_f16_e32 v158, v53, v70
	v_pack_b32_f16 v15, v15, v158
	v_add_f16_e32 v158, v68, v157
	v_add_f16_e32 v159, v51, v13
	v_pack_b32_f16 v158, v158, v159
	v_fma_f16 v159, v212, s12, v211
	v_fma_f16 v159, v213, s6, v159
	;; [unrolled: 1-line block ×5, first 2 shown]
	s_waitcnt vmcnt(0) lgkmcnt(0)
	s_barrier
	ds_write2_b32 v187, v15, v158 offset0:150 offset1:225
	v_fma_f16 v15, v226, s12, v225
	v_fma_f16 v158, v230, s0, v229
	v_fma_f16 v171, v197, s1, v171
	v_mul_f16_e32 v175, 0xba79, v159
	v_fma_f16 v15, v227, s6, v15
	v_fma_f16 v158, v231, s7, v158
	;; [unrolled: 1-line block ×3, first 2 shown]
	v_mul_f16_e32 v171, 0xba79, v171
	v_fma_f16 v15, v176, s1, v15
	v_fma_f16 v158, v177, s1, v158
	;; [unrolled: 1-line block ×3, first 2 shown]
	v_sub_f16_e32 v171, v219, v222
	v_sub_f16_e32 v176, v221, v223
	v_add_f16_e32 v177, v15, v175
	v_add_f16_e32 v178, v158, v159
	v_pack_b32_f16 v177, v177, v178
	v_pack_b32_f16 v171, v171, v176
	v_add_u32_e32 v192, 0x400, v187
	ds_write2_b32 v192, v177, v171 offset0:44 offset1:119
	v_sub_f16_e32 v171, v228, v217
	v_sub_f16_e32 v49, v71, v49
	;; [unrolled: 1-line block ×4, first 2 shown]
	v_pack_b32_f16 v70, v171, v71
	v_pack_b32_f16 v49, v49, v53
	v_add_u32_e32 v193, 0x600, v187
	ds_write2_b32 v193, v70, v49 offset0:66 offset1:141
	v_sub_f16_e32 v49, v68, v157
	v_sub_f16_e32 v15, v15, v175
	v_sub_f16_e32 v13, v51, v13
	v_sub_f16_e32 v51, v158, v159
	v_pack_b32_f16 v13, v49, v13
	v_pack_b32_f16 v15, v15, v51
	v_add_u32_e32 v194, 0x800, v187
	ds_write2_b32 v194, v13, v15 offset0:88 offset1:163
	v_lshrrev_b32_e32 v13, 16, v50
	v_mul_f16_sdwa v49, v50, v57 dst_sel:DWORD dst_unused:UNUSED_PAD src0_sel:DWORD src1_sel:WORD_1
	v_mul_f16_sdwa v15, v13, v57 dst_sel:DWORD dst_unused:UNUSED_PAD src0_sel:DWORD src1_sel:WORD_1
	v_fma_f16 v13, v13, v57, v49
	v_lshrrev_b32_e32 v49, 16, v52
	v_mul_f16_sdwa v51, v52, v59 dst_sel:DWORD dst_unused:UNUSED_PAD src0_sel:DWORD src1_sel:WORD_1
	v_fma_f16 v15, v50, v57, -v15
	v_mul_f16_sdwa v50, v49, v59 dst_sel:DWORD dst_unused:UNUSED_PAD src0_sel:DWORD src1_sel:WORD_1
	v_fma_f16 v49, v49, v59, v51
	v_lshrrev_b32_e32 v51, 16, v54
	v_mul_f16_sdwa v53, v54, v89 dst_sel:DWORD dst_unused:UNUSED_PAD src0_sel:DWORD src1_sel:WORD_1
	v_fma_f16 v50, v52, v59, -v50
	v_mul_f16_sdwa v52, v51, v89 dst_sel:DWORD dst_unused:UNUSED_PAD src0_sel:DWORD src1_sel:WORD_1
	v_fma_f16 v51, v51, v89, v53
	v_lshrrev_b32_e32 v53, 16, v69
	v_fma_f16 v52, v54, v89, -v52
	v_mul_f16_sdwa v54, v53, v91 dst_sel:DWORD dst_unused:UNUSED_PAD src0_sel:DWORD src1_sel:WORD_1
	v_fma_f16 v54, v69, v91, -v54
	v_mul_f16_sdwa v68, v69, v91 dst_sel:DWORD dst_unused:UNUSED_PAD src0_sel:DWORD src1_sel:WORD_1
	v_fma_f16 v53, v53, v91, v68
	v_sub_f16_e32 v157, v15, v50
	v_sub_f16_e32 v158, v54, v52
	v_add_f16_e32 v157, v157, v158
	v_sub_f16_e32 v158, v13, v49
	v_sub_f16_e32 v159, v53, v51
	v_add_f16_e32 v158, v158, v159
	v_lshrrev_b32_e32 v159, 16, v202
	v_mul_f16_sdwa v171, v202, v58 dst_sel:DWORD dst_unused:UNUSED_PAD src0_sel:DWORD src1_sel:WORD_1
	v_fma_f16 v175, v159, v58, v171
	v_lshrrev_b32_e32 v171, 16, v204
	v_mul_f16_sdwa v176, v204, v88 dst_sel:DWORD dst_unused:UNUSED_PAD src0_sel:DWORD src1_sel:WORD_1
	v_fma_f16 v176, v171, v88, v176
	v_mul_f16_sdwa v171, v171, v88 dst_sel:DWORD dst_unused:UNUSED_PAD src0_sel:DWORD src1_sel:WORD_1
	v_fma_f16 v177, v204, v88, -v171
	v_lshrrev_b32_e32 v171, 16, v206
	v_mul_f16_sdwa v178, v206, v90 dst_sel:DWORD dst_unused:UNUSED_PAD src0_sel:DWORD src1_sel:WORD_1
	v_fma_f16 v178, v171, v90, v178
	v_mul_f16_sdwa v171, v171, v90 dst_sel:DWORD dst_unused:UNUSED_PAD src0_sel:DWORD src1_sel:WORD_1
	v_fma_f16 v189, v206, v90, -v171
	v_lshrrev_b32_e32 v171, 16, v208
	v_mul_f16_sdwa v195, v208, v188 dst_sel:DWORD dst_unused:UNUSED_PAD src0_sel:DWORD src1_sel:WORD_1
	v_mul_f16_sdwa v159, v159, v58 dst_sel:DWORD dst_unused:UNUSED_PAD src0_sel:DWORD src1_sel:WORD_1
	v_fma_f16 v195, v171, v188, v195
	v_mul_f16_sdwa v171, v171, v188 dst_sel:DWORD dst_unused:UNUSED_PAD src0_sel:DWORD src1_sel:WORD_1
	v_fma_f16 v159, v202, v58, -v159
	v_fma_f16 v196, v208, v188, -v171
	v_sub_f16_e32 v171, v159, v177
	v_sub_f16_e32 v197, v196, v189
	v_add_f16_e32 v68, v50, v52
	v_add_f16_e32 v69, v15, v54
	;; [unrolled: 1-line block ×3, first 2 shown]
	v_sub_f16_e32 v171, v175, v176
	v_sub_f16_e32 v198, v195, v178
	v_fma_f16 v68, v68, -0.5, v199
	v_fma_f16 v69, v69, -0.5, v199
	v_lshrrev_b32_e32 v70, 16, v199
	v_add_f16_e32 v71, v199, v15
	v_add_f16_e32 v198, v171, v198
	v_lshrrev_b32_e32 v171, 16, v200
	v_mul_f16_sdwa v199, v200, v56 dst_sel:DWORD dst_unused:UNUSED_PAD src0_sel:DWORD src1_sel:WORD_1
	v_fma_f16 v199, v171, v56, v199
	v_mul_f16_sdwa v171, v171, v56 dst_sel:DWORD dst_unused:UNUSED_PAD src0_sel:DWORD src1_sel:WORD_1
	v_add_f16_e32 v208, v176, v178
	v_fma_f16 v200, v200, v56, -v171
	v_add_f16_e32 v171, v177, v189
	v_fma_f16 v208, v208, -0.5, v199
	v_sub_f16_e32 v210, v159, v196
	v_fma_f16 v202, v171, -0.5, v200
	v_sub_f16_e32 v204, v175, v195
	v_fma_f16 v211, v210, s12, v208
	v_sub_f16_e32 v212, v177, v189
	v_fma_f16 v171, v204, s0, v202
	;; [unrolled: 2-line block ×3, first 2 shown]
	v_fma_f16 v171, v206, s7, v171
	v_fma_f16 v211, v198, s1, v211
	;; [unrolled: 1-line block ×3, first 2 shown]
	v_mul_f16_e32 v213, 0x38b4, v211
	v_fma_f16 v213, v171, s13, v213
	v_mul_f16_e32 v171, 0xb8b4, v171
	v_mul_u32_u24_e32 v9, 0x2ee, v9
	v_fma_f16 v211, v211, s13, v171
	v_add_lshl_u32 v171, v9, v11, 2
	v_add_f16_e32 v9, v71, v50
	v_add_f16_e32 v11, v70, v13
	;; [unrolled: 1-line block ×17, first 2 shown]
	v_sub_f16_e32 v218, v49, v51
	v_sub_f16_e32 v220, v15, v54
	;; [unrolled: 1-line block ×5, first 2 shown]
	v_pack_b32_f16 v215, v215, v216
	v_sub_f16_e32 v216, v13, v53
	v_add_f16_e32 v15, v15, v50
	v_fma_f16 v50, v218, s12, v69
	v_fma_f16 v52, v218, s0, v69
	;; [unrolled: 1-line block ×6, first 2 shown]
	v_add_f16_e32 v52, v13, v53
	v_add_f16_e32 v219, v49, v51
	v_fma_f16 v52, v52, -0.5, v70
	v_sub_f16_e32 v13, v49, v13
	v_sub_f16_e32 v49, v51, v53
	v_add_f16_e32 v13, v13, v49
	v_fma_f16 v49, v222, s0, v52
	v_fma_f16 v51, v222, s12, v52
	v_fma_f16 v49, v220, s6, v49
	v_fma_f16 v51, v220, s7, v51
	v_fma_f16 v49, v13, s1, v49
	v_fma_f16 v13, v13, s1, v51
	v_add_f16_e32 v51, v159, v196
	v_fma_f16 v51, v51, -0.5, v200
	v_sub_f16_e32 v52, v177, v159
	v_sub_f16_e32 v53, v189, v196
	v_add_f16_e32 v52, v52, v53
	v_fma_f16 v53, v206, s12, v51
	v_fma_f16 v51, v206, s0, v51
	v_fma_f16 v53, v204, s7, v53
	v_fma_f16 v51, v204, s6, v51
	v_fma_f16 v53, v52, s1, v53
	v_fma_f16 v51, v52, s1, v51
	;; [unrolled: 11-line block ×3, first 2 shown]
	v_mul_f16_e32 v54, 0x3b9c, v69
	v_fma_f16 v54, v53, s1, v54
	v_mul_f16_e32 v53, 0xbb9c, v53
	v_fma_f16 v53, v69, s1, v53
	;; [unrolled: 2-line block ×3, first 2 shown]
	v_mul_f16_e32 v52, 0xb4f2, v52
	v_fma_f16 v219, v219, -0.5, v70
	v_fma_f16 v51, v51, s12, v52
	v_add_f16_e32 v52, v50, v54
	v_add_f16_e32 v70, v49, v53
	v_pack_b32_f16 v52, v52, v70
	v_add_f16_e32 v70, v15, v69
	v_add_f16_e32 v159, v13, v51
	v_pack_b32_f16 v70, v70, v159
	ds_write2_b32 v187, v224, v233 offset1:75
	v_fma_f16 v217, v216, s0, v68
	ds_write2_b32 v171, v52, v70 offset0:150 offset1:225
	v_fma_f16 v52, v216, s12, v68
	v_fma_f16 v217, v218, s7, v217
	;; [unrolled: 1-line block ×17, first 2 shown]
	v_mul_f16_e32 v158, 0xba79, v70
	v_fma_f16 v159, v157, s7, v158
	v_mul_f16_e32 v157, 0xba79, v157
	v_fma_f16 v70, v70, s6, v157
	v_sub_f16_e32 v9, v9, v71
	v_sub_f16_e32 v11, v11, v214
	v_add_f16_e32 v71, v52, v159
	v_add_f16_e32 v157, v68, v70
	v_pack_b32_f16 v71, v71, v157
	v_pack_b32_f16 v9, v9, v11
	v_add_u32_e32 v157, 0x400, v171
	ds_write2_b32 v157, v71, v9 offset0:44 offset1:119
	v_sub_f16_e32 v9, v217, v213
	v_sub_f16_e32 v11, v50, v54
	;; [unrolled: 1-line block ×4, first 2 shown]
	v_pack_b32_f16 v9, v9, v50
	v_pack_b32_f16 v11, v11, v49
	v_add_u32_e32 v158, 0x600, v171
	ds_write2_b32 v158, v9, v11 offset0:66 offset1:141
	v_sub_f16_e32 v9, v15, v69
	v_sub_f16_e32 v11, v52, v159
	;; [unrolled: 1-line block ×4, first 2 shown]
	v_pack_b32_f16 v9, v9, v13
	v_pack_b32_f16 v11, v11, v15
	v_add_u32_e32 v159, 0x800, v171
	ds_write2_b32 v159, v9, v11 offset0:88 offset1:163
	v_lshrrev_b32_e32 v9, 16, v201
	v_mul_f16_sdwa v13, v201, v92 dst_sel:DWORD dst_unused:UNUSED_PAD src0_sel:DWORD src1_sel:WORD_1
	v_mul_f16_sdwa v11, v9, v92 dst_sel:DWORD dst_unused:UNUSED_PAD src0_sel:DWORD src1_sel:WORD_1
	v_fma_f16 v9, v9, v92, v13
	v_lshrrev_b32_e32 v13, 16, v8
	v_mul_f16_sdwa v15, v13, v93 dst_sel:DWORD dst_unused:UNUSED_PAD src0_sel:DWORD src1_sel:WORD_1
	v_fma_f16 v15, v8, v93, -v15
	v_mul_f16_sdwa v8, v8, v93 dst_sel:DWORD dst_unused:UNUSED_PAD src0_sel:DWORD src1_sel:WORD_1
	v_fma_f16 v8, v13, v93, v8
	v_lshrrev_b32_e32 v13, 16, v203
	v_mul_f16_sdwa v50, v203, v94 dst_sel:DWORD dst_unused:UNUSED_PAD src0_sel:DWORD src1_sel:WORD_1
	v_mul_f16_sdwa v49, v13, v94 dst_sel:DWORD dst_unused:UNUSED_PAD src0_sel:DWORD src1_sel:WORD_1
	v_fma_f16 v13, v13, v94, v50
	v_lshrrev_b32_e32 v50, 16, v10
	v_mul_f16_sdwa v51, v50, v95 dst_sel:DWORD dst_unused:UNUSED_PAD src0_sel:DWORD src1_sel:WORD_1
	v_fma_f16 v51, v10, v95, -v51
	v_mul_f16_sdwa v10, v10, v95 dst_sel:DWORD dst_unused:UNUSED_PAD src0_sel:DWORD src1_sel:WORD_1
	v_fma_f16 v10, v50, v95, v10
	;; [unrolled: 9-line block ×4, first 2 shown]
	v_lshrrev_b32_e32 v69, 16, v209
	v_mul_f16_sdwa v71, v69, v185 dst_sel:DWORD dst_unused:UNUSED_PAD src0_sel:DWORD src1_sel:WORD_1
	v_sub_f16_e32 v178, v15, v51
	v_sub_f16_e32 v189, v70, v54
	v_fma_f16 v49, v203, v94, -v49
	v_fma_f16 v52, v205, v84, -v52
	;; [unrolled: 1-line block ×4, first 2 shown]
	v_mul_f16_sdwa v175, v209, v185 dst_sel:DWORD dst_unused:UNUSED_PAD src0_sel:DWORD src1_sel:WORD_1
	v_add_f16_e32 v178, v178, v189
	v_sub_f16_e32 v189, v8, v10
	v_sub_f16_e32 v195, v14, v12
	v_fma_f16 v69, v69, v185, v175
	v_add_f16_e32 v189, v189, v195
	v_sub_f16_e32 v195, v49, v52
	v_sub_f16_e32 v196, v71, v68
	v_fma_f16 v11, v201, v92, -v11
	v_add_f16_e32 v195, v195, v196
	v_sub_f16_e32 v196, v13, v50
	v_sub_f16_e32 v197, v69, v53
	v_add_f16_e32 v201, v50, v53
	v_add_f16_e32 v196, v196, v197
	;; [unrolled: 1-line block ×3, first 2 shown]
	v_fma_f16 v201, v201, -0.5, v9
	v_sub_f16_e32 v202, v49, v71
	v_fma_f16 v197, v197, -0.5, v11
	v_sub_f16_e32 v198, v13, v69
	v_fma_f16 v203, v202, s12, v201
	v_sub_f16_e32 v204, v52, v68
	v_fma_f16 v199, v198, s0, v197
	;; [unrolled: 2-line block ×3, first 2 shown]
	v_fma_f16 v199, v200, s7, v199
	v_fma_f16 v203, v196, s1, v203
	;; [unrolled: 1-line block ×3, first 2 shown]
	v_mul_f16_e32 v205, 0x38b4, v203
	v_add_f16_e32 v175, v51, v54
	v_add_f16_e32 v176, v15, v70
	v_lshrrev_b32_e32 v177, 16, v48
	v_fma_f16 v205, v199, s13, v205
	v_mul_f16_e32 v199, 0xb8b4, v199
	v_fma_f16 v175, v175, -0.5, v48
	v_fma_f16 v176, v176, -0.5, v48
	v_add_f16_e32 v48, v48, v15
	v_fma_f16 v199, v203, s13, v199
	v_add_f16_e32 v174, v177, v8
	v_add_f16_e32 v203, v11, v49
	;; [unrolled: 1-line block ×17, first 2 shown]
	v_sub_f16_e32 v210, v10, v12
	v_sub_f16_e32 v212, v15, v70
	;; [unrolled: 1-line block ×5, first 2 shown]
	v_pack_b32_f16 v207, v207, v208
	v_sub_f16_e32 v208, v8, v14
	v_add_f16_e32 v15, v15, v51
	v_fma_f16 v51, v210, s12, v176
	v_fma_f16 v54, v210, s0, v176
	;; [unrolled: 1-line block ×6, first 2 shown]
	v_add_f16_e32 v54, v8, v14
	v_add_f16_e32 v224, v221, v211
	;; [unrolled: 1-line block ×3, first 2 shown]
	v_fma_f16 v54, v54, -0.5, v177
	v_sub_f16_e32 v8, v10, v8
	v_sub_f16_e32 v10, v12, v14
	v_add_f16_e32 v8, v8, v10
	v_fma_f16 v10, v214, s0, v54
	v_fma_f16 v12, v214, s12, v54
	;; [unrolled: 1-line block ×6, first 2 shown]
	v_add_f16_e32 v12, v49, v71
	v_fma_f16 v11, v12, -0.5, v11
	v_sub_f16_e32 v12, v52, v49
	v_sub_f16_e32 v14, v68, v71
	v_add_f16_e32 v12, v12, v14
	v_fma_f16 v14, v200, s12, v11
	v_fma_f16 v11, v200, s0, v11
	;; [unrolled: 1-line block ×6, first 2 shown]
	v_add_f16_e32 v12, v13, v69
	v_fma_f16 v9, v12, -0.5, v9
	v_sub_f16_e32 v12, v50, v13
	v_sub_f16_e32 v13, v53, v69
	v_add_f16_e32 v12, v12, v13
	v_fma_f16 v13, v204, s0, v9
	v_fma_f16 v13, v202, s6, v13
	;; [unrolled: 1-line block ×6, first 2 shown]
	v_mul_f16_e32 v12, 0x3b9c, v13
	v_fma_f16 v12, v14, s1, v12
	v_mul_f16_e32 v14, 0xbb9c, v14
	v_fma_f16 v13, v13, s1, v14
	;; [unrolled: 2-line block ×4, first 2 shown]
	v_add_f16_e32 v11, v51, v12
	v_add_f16_e32 v49, v10, v13
	v_pack_b32_f16 v11, v11, v49
	v_add_f16_e32 v49, v15, v14
	v_add_f16_e32 v50, v8, v9
	v_pack_b32_f16 v49, v49, v50
	v_fma_f16 v50, v198, s12, v197
	v_add_f16_e32 v223, v217, v213
	v_fma_f16 v50, v200, s6, v50
	v_fma_f16 v52, v202, s0, v201
	v_pack_b32_f16 v223, v223, v224
	v_fma_f16 v211, v211, -0.5, v177
	v_fma_f16 v50, v195, s1, v50
	v_fma_f16 v52, v204, s7, v52
	ds_write2_b32 v171, v215, v223 offset1:75
	ds_write2_b32 v173, v11, v49 offset0:150 offset1:225
	v_fma_f16 v11, v208, s12, v175
	v_fma_f16 v49, v212, s0, v211
	;; [unrolled: 1-line block ×3, first 2 shown]
	v_mul_f16_e32 v53, 0xba79, v50
	v_fma_f16 v11, v210, s6, v11
	v_fma_f16 v49, v214, s7, v49
	;; [unrolled: 1-line block ×3, first 2 shown]
	v_mul_f16_e32 v52, 0xba79, v52
	v_fma_f16 v209, v208, s0, v175
	v_fma_f16 v213, v212, s12, v211
	;; [unrolled: 1-line block ×7, first 2 shown]
	v_sub_f16_e32 v48, v48, v203
	v_sub_f16_e32 v52, v174, v206
	v_add_f16_e32 v54, v11, v53
	v_add_f16_e32 v68, v49, v50
	v_fma_f16 v209, v178, s1, v209
	v_fma_f16 v213, v189, s1, v213
	v_pack_b32_f16 v54, v54, v68
	v_pack_b32_f16 v48, v48, v52
	v_add_u32_e32 v174, 0x400, v173
	ds_write2_b32 v174, v54, v48 offset0:44 offset1:119
	v_sub_f16_e32 v48, v209, v205
	v_sub_f16_e32 v12, v51, v12
	;; [unrolled: 1-line block ×4, first 2 shown]
	v_pack_b32_f16 v13, v48, v51
	v_pack_b32_f16 v10, v12, v10
	v_add_u32_e32 v175, 0x600, v173
	ds_write2_b32 v175, v13, v10 offset0:66 offset1:141
	v_sub_f16_e32 v10, v15, v14
	v_sub_f16_e32 v11, v11, v53
	;; [unrolled: 1-line block ×4, first 2 shown]
	v_add_f16_e32 v215, v209, v205
	v_add_f16_e32 v216, v213, v199
	v_pack_b32_f16 v8, v10, v8
	v_pack_b32_f16 v9, v11, v9
	v_add_u32_e32 v176, 0x800, v173
	v_pack_b32_f16 v215, v215, v216
	ds_write2_b32 v176, v8, v9 offset0:88 offset1:163
	v_lshlrev_b32_e32 v8, 4, v137
	ds_write2_b32 v173, v207, v215 offset1:75
	s_waitcnt lgkmcnt(0)
	s_barrier
	global_load_dwordx4 v[12:15], v8, s[2:3] offset:2988
	v_lshlrev_b32_e32 v8, 4, v83
	global_load_dwordx4 v[8:11], v8, s[2:3] offset:2988
	ds_read2_b32 v[48:49], v119 offset0:110 offset1:235
	ds_read2_b32 v[198:199], v142 offset1:125
	s_waitcnt lgkmcnt(1)
	v_lshrrev_b32_e32 v50, 16, v48
	s_waitcnt lgkmcnt(0)
	v_lshrrev_b32_e32 v220, 16, v199
	s_waitcnt vmcnt(1)
	v_mul_f16_sdwa v51, v48, v12 dst_sel:DWORD dst_unused:UNUSED_PAD src0_sel:DWORD src1_sel:WORD_1
	v_fma_f16 v52, v50, v12, v51
	v_mul_f16_sdwa v50, v50, v12 dst_sel:DWORD dst_unused:UNUSED_PAD src0_sel:DWORD src1_sel:WORD_1
	v_fma_f16 v54, v48, v12, -v50
	ds_read2_b32 v[50:51], v141 offset0:92 offset1:217
	v_lshrrev_b32_e32 v48, 16, v49
	s_waitcnt vmcnt(0)
	v_mul_f16_sdwa v53, v48, v8 dst_sel:DWORD dst_unused:UNUSED_PAD src0_sel:DWORD src1_sel:WORD_1
	v_fma_f16 v69, v49, v8, -v53
	v_mul_f16_sdwa v49, v49, v8 dst_sel:DWORD dst_unused:UNUSED_PAD src0_sel:DWORD src1_sel:WORD_1
	v_fma_f16 v68, v48, v8, v49
	s_waitcnt lgkmcnt(0)
	v_lshrrev_b32_e32 v48, 16, v50
	v_mul_f16_sdwa v49, v50, v13 dst_sel:DWORD dst_unused:UNUSED_PAD src0_sel:DWORD src1_sel:WORD_1
	v_fma_f16 v53, v48, v13, v49
	v_mul_f16_sdwa v48, v48, v13 dst_sel:DWORD dst_unused:UNUSED_PAD src0_sel:DWORD src1_sel:WORD_1
	v_fma_f16 v196, v50, v13, -v48
	ds_read2_b32 v[48:49], v109 offset0:74 offset1:199
	v_lshrrev_b32_e32 v50, 16, v51
	v_mul_f16_sdwa v70, v50, v9 dst_sel:DWORD dst_unused:UNUSED_PAD src0_sel:DWORD src1_sel:WORD_1
	v_fma_f16 v71, v51, v9, -v70
	v_mul_f16_sdwa v51, v51, v9 dst_sel:DWORD dst_unused:UNUSED_PAD src0_sel:DWORD src1_sel:WORD_1
	v_fma_f16 v70, v50, v9, v51
	s_waitcnt lgkmcnt(0)
	v_lshrrev_b32_e32 v50, 16, v48
	v_mul_f16_sdwa v51, v48, v14 dst_sel:DWORD dst_unused:UNUSED_PAD src0_sel:DWORD src1_sel:WORD_1
	v_fma_f16 v177, v50, v14, v51
	v_mul_f16_sdwa v50, v50, v14 dst_sel:DWORD dst_unused:UNUSED_PAD src0_sel:DWORD src1_sel:WORD_1
	v_fma_f16 v200, v48, v14, -v50
	ds_read2_b32 v[50:51], v126 offset0:56 offset1:181
	v_lshrrev_b32_e32 v48, 16, v49
	v_mul_f16_sdwa v83, v48, v10 dst_sel:DWORD dst_unused:UNUSED_PAD src0_sel:DWORD src1_sel:WORD_1
	v_fma_f16 v178, v49, v10, -v83
	v_mul_f16_sdwa v49, v49, v10 dst_sel:DWORD dst_unused:UNUSED_PAD src0_sel:DWORD src1_sel:WORD_1
	v_fma_f16 v83, v48, v10, v49
	s_waitcnt lgkmcnt(0)
	v_lshrrev_b32_e32 v48, 16, v50
	v_mul_f16_sdwa v49, v50, v15 dst_sel:DWORD dst_unused:UNUSED_PAD src0_sel:DWORD src1_sel:WORD_1
	v_fma_f16 v197, v48, v15, v49
	v_mul_f16_sdwa v48, v48, v15 dst_sel:DWORD dst_unused:UNUSED_PAD src0_sel:DWORD src1_sel:WORD_1
	v_fma_f16 v201, v50, v15, -v48
	v_lshrrev_b32_e32 v48, 16, v51
	v_mul_f16_sdwa v49, v48, v11 dst_sel:DWORD dst_unused:UNUSED_PAD src0_sel:DWORD src1_sel:WORD_1
	v_fma_f16 v195, v51, v11, -v49
	v_mul_f16_sdwa v49, v51, v11 dst_sel:DWORD dst_unused:UNUSED_PAD src0_sel:DWORD src1_sel:WORD_1
	v_fma_f16 v189, v48, v11, v49
	v_sub_f16_e32 v48, v54, v196
	v_sub_f16_e32 v49, v201, v200
	v_add_f16_e32 v48, v48, v49
	v_add_f16_e32 v49, v196, v200
	v_fma_f16 v49, v49, -0.5, v198
	v_sub_f16_e32 v202, v52, v197
	v_fma_f16 v50, v202, s0, v49
	v_sub_f16_e32 v51, v53, v177
	v_fma_f16 v49, v202, s12, v49
	v_fma_f16 v50, v51, s7, v50
	;; [unrolled: 1-line block ×5, first 2 shown]
	v_sub_f16_e32 v48, v196, v54
	v_sub_f16_e32 v49, v200, v201
	v_add_f16_e32 v204, v48, v49
	v_add_f16_e32 v48, v54, v201
	v_fma_f16 v48, v48, -0.5, v198
	v_fma_f16 v49, v51, s12, v48
	v_fma_f16 v205, v51, s0, v48
	v_lshlrev_b32_e32 v48, 4, v82
	v_fma_f16 v206, v202, s7, v49
	global_load_dwordx4 v[48:51], v48, s[2:3] offset:2988
	v_fma_f16 v82, v202, s6, v205
	v_fma_f16 v202, v204, s1, v206
	;; [unrolled: 1-line block ×3, first 2 shown]
	v_add_f16_e32 v204, v198, v54
	v_add_f16_e32 v204, v204, v196
	;; [unrolled: 1-line block ×4, first 2 shown]
	v_sub_f16_e32 v54, v54, v201
	v_sub_f16_e32 v196, v196, v200
	;; [unrolled: 1-line block ×4, first 2 shown]
	v_add_f16_e32 v200, v200, v201
	v_lshrrev_b32_e32 v198, 16, v198
	v_add_f16_e32 v201, v53, v177
	v_fma_f16 v201, v201, -0.5, v198
	v_fma_f16 v205, v54, s12, v201
	v_fma_f16 v201, v54, s0, v201
	;; [unrolled: 1-line block ×6, first 2 shown]
	v_add_f16_e32 v200, v52, v197
	v_fma_f16 v200, v200, -0.5, v198
	v_add_f16_e32 v198, v198, v52
	v_add_f16_e32 v198, v198, v53
	v_sub_f16_e32 v52, v53, v52
	v_add_f16_e32 v53, v198, v177
	v_sub_f16_e32 v177, v177, v197
	v_add_f16_e32 v52, v52, v177
	v_fma_f16 v177, v196, s0, v200
	v_fma_f16 v196, v196, s12, v200
	;; [unrolled: 1-line block ×6, first 2 shown]
	v_add_f16_e32 v54, v71, v178
	v_pack_b32_f16 v196, v203, v205
	v_add_f16_e32 v53, v53, v197
	v_fma_f16 v218, v54, -0.5, v199
	v_add_f16_e32 v54, v69, v195
	ds_write_b32 v142, v196 offset:3000
	v_pack_b32_f16 v52, v82, v52
	v_fma_f16 v219, v54, -0.5, v199
	v_add_f16_e32 v54, v199, v69
	v_pack_b32_f16 v53, v204, v53
	v_pack_b32_f16 v177, v202, v177
	ds_read2_b32 v[196:197], v138 offset0:122 offset1:247
	ds_read2_b32 v[198:199], v110 offset0:104 offset1:229
	;; [unrolled: 1-line block ×10, first 2 shown]
	ds_write_b32 v142, v52 offset:9000
	v_pack_b32_f16 v52, v216, v217
	ds_write_b32 v142, v52 offset:12000
	v_add_f16_e32 v52, v54, v71
	v_add_f16_e32 v54, v220, v68
	;; [unrolled: 1-line block ×7, first 2 shown]
	v_pack_b32_f16 v52, v52, v54
	ds_write_b32 v142, v177 offset:6000
	ds_write2_b32 v142, v53, v52 offset1:125
	v_sub_f16_e32 v52, v69, v71
	v_sub_f16_e32 v53, v195, v178
	v_add_f16_e32 v82, v52, v53
	v_sub_f16_e32 v52, v68, v70
	v_sub_f16_e32 v53, v189, v83
	v_add_f16_e32 v216, v52, v53
	v_lshlrev_b32_e32 v52, 4, v55
	global_load_dwordx4 v[52:55], v52, s[2:3] offset:2988
	s_waitcnt lgkmcnt(12)
	v_lshrrev_b32_e32 v177, 16, v198
	v_add_f16_e32 v228, v70, v83
	v_sub_f16_e32 v226, v68, v189
	v_fma_f16 v228, v228, -0.5, v220
	v_sub_f16_e32 v229, v69, v195
	v_sub_f16_e32 v227, v70, v83
	v_fma_f16 v230, v229, s12, v228
	v_sub_f16_e32 v231, v71, v178
	v_sub_f16_e32 v69, v71, v69
	;; [unrolled: 1-line block ×3, first 2 shown]
	v_fma_f16 v230, v231, s6, v230
	s_waitcnt vmcnt(1)
	v_mul_f16_sdwa v217, v198, v48 dst_sel:DWORD dst_unused:UNUSED_PAD src0_sel:DWORD src1_sel:WORD_1
	v_fma_f16 v217, v177, v48, v217
	v_mul_f16_sdwa v177, v177, v48 dst_sel:DWORD dst_unused:UNUSED_PAD src0_sel:DWORD src1_sel:WORD_1
	v_fma_f16 v198, v198, v48, -v177
	s_waitcnt lgkmcnt(11)
	v_lshrrev_b32_e32 v177, 16, v200
	v_mul_f16_sdwa v221, v200, v49 dst_sel:DWORD dst_unused:UNUSED_PAD src0_sel:DWORD src1_sel:WORD_1
	v_fma_f16 v221, v177, v49, v221
	v_mul_f16_sdwa v177, v177, v49 dst_sel:DWORD dst_unused:UNUSED_PAD src0_sel:DWORD src1_sel:WORD_1
	v_fma_f16 v200, v200, v49, -v177
	s_waitcnt lgkmcnt(10)
	v_lshrrev_b32_e32 v177, 16, v202
	;; [unrolled: 6-line block ×3, first 2 shown]
	v_mul_f16_sdwa v223, v204, v51 dst_sel:DWORD dst_unused:UNUSED_PAD src0_sel:DWORD src1_sel:WORD_1
	v_fma_f16 v223, v177, v51, v223
	v_mul_f16_sdwa v177, v177, v51 dst_sel:DWORD dst_unused:UNUSED_PAD src0_sel:DWORD src1_sel:WORD_1
	v_fma_f16 v204, v204, v51, -v177
	v_sub_f16_e32 v177, v198, v200
	v_sub_f16_e32 v224, v204, v202
	v_add_f16_e32 v224, v177, v224
	v_sub_f16_e32 v177, v217, v221
	v_sub_f16_e32 v225, v223, v222
	v_add_f16_e32 v225, v177, v225
	v_fma_f16 v177, v226, s0, v218
	v_fma_f16 v177, v227, s7, v177
	v_add_f16_e32 v69, v69, v71
	v_add_f16_e32 v71, v68, v189
	v_sub_f16_e32 v68, v70, v68
	v_sub_f16_e32 v70, v83, v189
	v_fma_f16 v177, v82, s1, v177
	v_fma_f16 v230, v216, s1, v230
	v_add_f16_e32 v68, v68, v70
	v_sub_f16_e32 v70, v200, v198
	v_sub_f16_e32 v83, v202, v204
	v_pack_b32_f16 v230, v177, v230
	v_add_f16_e32 v177, v200, v202
	v_lshrrev_b32_e32 v235, 16, v196
	v_add_f16_e32 v236, v221, v222
	v_fma_f16 v71, v71, -0.5, v220
	v_add_f16_e32 v70, v70, v83
	v_sub_f16_e32 v83, v221, v217
	v_sub_f16_e32 v178, v222, v223
	v_fma_f16 v232, v177, -0.5, v196
	v_sub_f16_e32 v233, v217, v223
	v_fma_f16 v236, v236, -0.5, v235
	v_sub_f16_e32 v237, v198, v204
	v_add_f16_e32 v83, v83, v178
	v_fma_f16 v178, v227, s12, v219
	v_fma_f16 v189, v231, s0, v71
	;; [unrolled: 1-line block ×3, first 2 shown]
	v_sub_f16_e32 v234, v221, v222
	v_fma_f16 v238, v237, s12, v236
	v_sub_f16_e32 v239, v200, v202
	v_fma_f16 v178, v226, s7, v178
	v_fma_f16 v189, v229, s6, v189
	;; [unrolled: 1-line block ×8, first 2 shown]
	v_pack_b32_f16 v178, v178, v189
	v_add_f16_e32 v189, v198, v204
	v_add_f16_e32 v220, v217, v223
	v_pack_b32_f16 v238, v177, v238
	v_add_u32_e32 v177, 0xc00, v142
	v_fma_f16 v189, v189, -0.5, v196
	v_fma_f16 v220, v220, -0.5, v235
	ds_write2_b32 v177, v230, v238 offset0:107 offset1:232
	v_fma_f16 v195, v234, s12, v189
	v_fma_f16 v230, v239, s0, v220
	;; [unrolled: 1-line block ×10, first 2 shown]
	v_pack_b32_f16 v195, v195, v230
	v_fma_f16 v71, v233, s6, v71
	ds_write2_b32 v144, v178, v195 offset0:89 offset1:214
	v_fma_f16 v178, v227, s0, v219
	v_fma_f16 v70, v70, s1, v71
	;; [unrolled: 1-line block ×7, first 2 shown]
	v_pack_b32_f16 v68, v69, v68
	v_pack_b32_f16 v69, v70, v71
	v_add_u32_e32 v178, 0x2400, v142
	ds_write2_b32 v178, v68, v69 offset0:71 offset1:196
	v_fma_f16 v68, v226, s12, v218
	v_fma_f16 v69, v229, s0, v228
	;; [unrolled: 1-line block ×12, first 2 shown]
	v_pack_b32_f16 v68, v68, v69
	v_pack_b32_f16 v69, v70, v71
	ds_write2_b32 v146, v68, v69 offset0:53 offset1:178
	v_lshrrev_b32_e32 v68, 16, v199
	s_waitcnt vmcnt(0)
	v_mul_f16_sdwa v69, v68, v52 dst_sel:DWORD dst_unused:UNUSED_PAD src0_sel:DWORD src1_sel:WORD_1
	v_fma_f16 v189, v199, v52, -v69
	v_mul_f16_sdwa v69, v199, v52 dst_sel:DWORD dst_unused:UNUSED_PAD src0_sel:DWORD src1_sel:WORD_1
	v_fma_f16 v195, v68, v52, v69
	v_lshrrev_b32_e32 v68, 16, v201
	v_mul_f16_sdwa v69, v68, v53 dst_sel:DWORD dst_unused:UNUSED_PAD src0_sel:DWORD src1_sel:WORD_1
	v_fma_f16 v199, v201, v53, -v69
	v_mul_f16_sdwa v69, v201, v53 dst_sel:DWORD dst_unused:UNUSED_PAD src0_sel:DWORD src1_sel:WORD_1
	v_lshrrev_b32_e32 v82, 16, v203
	v_fma_f16 v201, v68, v53, v69
	v_mul_f16_sdwa v83, v82, v54 dst_sel:DWORD dst_unused:UNUSED_PAD src0_sel:DWORD src1_sel:WORD_1
	v_lshlrev_b32_e32 v68, 4, v81
	v_mul_f16_sdwa v81, v203, v54 dst_sel:DWORD dst_unused:UNUSED_PAD src0_sel:DWORD src1_sel:WORD_1
	v_fma_f16 v216, v203, v54, -v83
	v_fma_f16 v203, v82, v54, v81
	v_lshrrev_b32_e32 v81, 16, v205
	v_mul_f16_sdwa v82, v81, v55 dst_sel:DWORD dst_unused:UNUSED_PAD src0_sel:DWORD src1_sel:WORD_1
	v_fma_f16 v218, v205, v55, -v82
	v_mul_f16_sdwa v82, v205, v55 dst_sel:DWORD dst_unused:UNUSED_PAD src0_sel:DWORD src1_sel:WORD_1
	v_fma_f16 v205, v81, v55, v82
	v_add_f16_e32 v81, v196, v198
	v_add_f16_e32 v82, v235, v217
	;; [unrolled: 1-line block ×4, first 2 shown]
	global_load_dwordx4 v[68:71], v68, s[2:3] offset:2988
	v_add_f16_e32 v81, v81, v202
	v_add_f16_e32 v82, v82, v222
	;; [unrolled: 1-line block ×6, first 2 shown]
	v_fma_f16 v83, v83, -0.5, v197
	v_fma_f16 v196, v196, -0.5, v197
	v_lshrrev_b32_e32 v198, 16, v197
	v_add_f16_e32 v197, v197, v189
	v_pack_b32_f16 v81, v81, v82
	v_add_f16_e32 v82, v197, v199
	v_add_f16_e32 v197, v198, v195
	;; [unrolled: 1-line block ×7, first 2 shown]
	v_pack_b32_f16 v82, v82, v197
	ds_write2_b32 v138, v81, v82 offset0:122 offset1:247
	v_sub_f16_e32 v81, v189, v199
	v_sub_f16_e32 v82, v218, v216
	;; [unrolled: 1-line block ×3, first 2 shown]
	v_add_f16_e32 v81, v81, v82
	v_fma_f16 v82, v197, s0, v83
	v_sub_f16_e32 v200, v201, v203
	v_fma_f16 v82, v200, s7, v82
	v_fma_f16 v202, v81, s1, v82
	;; [unrolled: 1-line block ×5, first 2 shown]
	v_sub_f16_e32 v81, v199, v189
	v_sub_f16_e32 v82, v216, v218
	v_add_f16_e32 v217, v81, v82
	v_fma_f16 v81, v200, s12, v196
	v_fma_f16 v196, v200, s0, v196
	;; [unrolled: 1-line block ×3, first 2 shown]
	global_load_dwordx4 v[80:83], v80, s[2:3] offset:2988
	v_fma_f16 v196, v197, s6, v196
	v_fma_f16 v197, v217, s1, v200
	v_sub_f16_e32 v199, v199, v216
	v_sub_f16_e32 v200, v195, v201
	;; [unrolled: 1-line block ×3, first 2 shown]
	v_add_f16_e32 v200, v200, v216
	v_add_f16_e32 v216, v201, v203
	v_sub_f16_e32 v189, v189, v218
	v_fma_f16 v216, v216, -0.5, v198
	v_fma_f16 v196, v217, s1, v196
	v_fma_f16 v217, v189, s12, v216
	;; [unrolled: 1-line block ×7, first 2 shown]
	v_add_f16_e32 v216, v195, v205
	v_fma_f16 v198, v216, -0.5, v198
	v_sub_f16_e32 v195, v201, v195
	v_sub_f16_e32 v201, v203, v205
	v_add_f16_e32 v195, v195, v201
	v_fma_f16 v201, v199, s0, v198
	v_fma_f16 v198, v199, s12, v198
	v_fma_f16 v199, v189, s6, v201
	v_fma_f16 v189, v189, s7, v198
	v_fma_f16 v198, v195, s1, v199
	v_fma_f16 v189, v195, s1, v189
	s_waitcnt lgkmcnt(12)
	v_lshrrev_b32_e32 v195, 16, v208
	s_waitcnt lgkmcnt(11)
	v_lshrrev_b32_e32 v201, 16, v210
	;; [unrolled: 2-line block ×3, first 2 shown]
	v_pack_b32_f16 v189, v196, v189
	ds_write_b32 v142, v189 offset:10500
	v_pack_b32_f16 v189, v204, v200
	v_pack_b32_f16 v197, v197, v198
	ds_write_b32 v142, v189 offset:13500
	v_lshrrev_b32_e32 v200, 16, v206
	v_pack_b32_f16 v202, v202, v217
	ds_write_b32 v142, v197 offset:7500
	v_lshrrev_b32_e32 v225, 16, v207
	s_movk_i32 s2, 0x5000
	s_mov_b32 s3, 0xba79
	s_waitcnt vmcnt(1)
	v_mul_f16_sdwa v199, v208, v68 dst_sel:DWORD dst_unused:UNUSED_PAD src0_sel:DWORD src1_sel:WORD_1
	v_fma_f16 v199, v195, v68, v199
	v_mul_f16_sdwa v195, v195, v68 dst_sel:DWORD dst_unused:UNUSED_PAD src0_sel:DWORD src1_sel:WORD_1
	v_fma_f16 v195, v208, v68, -v195
	v_mul_f16_sdwa v203, v210, v69 dst_sel:DWORD dst_unused:UNUSED_PAD src0_sel:DWORD src1_sel:WORD_1
	v_mul_f16_sdwa v208, v212, v70 dst_sel:DWORD dst_unused:UNUSED_PAD src0_sel:DWORD src1_sel:WORD_1
	v_fma_f16 v203, v201, v69, v203
	v_mul_f16_sdwa v201, v201, v69 dst_sel:DWORD dst_unused:UNUSED_PAD src0_sel:DWORD src1_sel:WORD_1
	v_fma_f16 v208, v205, v70, v208
	v_mul_f16_sdwa v205, v205, v70 dst_sel:DWORD dst_unused:UNUSED_PAD src0_sel:DWORD src1_sel:WORD_1
	v_fma_f16 v201, v210, v69, -v201
	v_fma_f16 v205, v212, v70, -v205
	s_waitcnt lgkmcnt(12)
	v_lshrrev_b32_e32 v210, 16, v214
	v_mul_f16_sdwa v212, v214, v71 dst_sel:DWORD dst_unused:UNUSED_PAD src0_sel:DWORD src1_sel:WORD_1
	v_fma_f16 v212, v210, v71, v212
	v_mul_f16_sdwa v210, v210, v71 dst_sel:DWORD dst_unused:UNUSED_PAD src0_sel:DWORD src1_sel:WORD_1
	v_fma_f16 v210, v214, v71, -v210
	v_sub_f16_e32 v214, v195, v201
	v_sub_f16_e32 v216, v210, v205
	v_add_f16_e32 v189, v201, v205
	v_add_f16_e32 v204, v203, v208
	;; [unrolled: 1-line block ×3, first 2 shown]
	v_sub_f16_e32 v216, v199, v203
	v_sub_f16_e32 v218, v212, v208
	v_fma_f16 v196, v189, -0.5, v206
	v_sub_f16_e32 v197, v199, v212
	v_fma_f16 v204, v204, -0.5, v200
	v_sub_f16_e32 v217, v195, v210
	v_add_f16_e32 v216, v216, v218
	v_fma_f16 v189, v197, s0, v196
	v_sub_f16_e32 v198, v203, v208
	v_fma_f16 v218, v217, s12, v204
	v_sub_f16_e32 v219, v201, v205
	v_fma_f16 v189, v198, s7, v189
	v_fma_f16 v218, v219, s6, v218
	;; [unrolled: 1-line block ×4, first 2 shown]
	v_pack_b32_f16 v218, v189, v218
	v_add_u32_e32 v189, 0x1000, v142
	ds_write2_b32 v189, v202, v218 offset0:101 offset1:226
	v_lshrrev_b32_e32 v202, 16, v209
	s_waitcnt vmcnt(0)
	v_mul_f16_sdwa v218, v202, v80 dst_sel:DWORD dst_unused:UNUSED_PAD src0_sel:DWORD src1_sel:WORD_1
	v_fma_f16 v218, v209, v80, -v218
	v_mul_f16_sdwa v209, v209, v80 dst_sel:DWORD dst_unused:UNUSED_PAD src0_sel:DWORD src1_sel:WORD_1
	v_fma_f16 v202, v202, v80, v209
	v_lshrrev_b32_e32 v209, 16, v211
	v_mul_f16_sdwa v220, v209, v81 dst_sel:DWORD dst_unused:UNUSED_PAD src0_sel:DWORD src1_sel:WORD_1
	v_fma_f16 v220, v211, v81, -v220
	v_mul_f16_sdwa v211, v211, v81 dst_sel:DWORD dst_unused:UNUSED_PAD src0_sel:DWORD src1_sel:WORD_1
	v_fma_f16 v209, v209, v81, v211
	v_lshrrev_b32_e32 v211, 16, v213
	;; [unrolled: 5-line block ×3, first 2 shown]
	v_mul_f16_sdwa v222, v213, v83 dst_sel:DWORD dst_unused:UNUSED_PAD src0_sel:DWORD src1_sel:WORD_1
	v_fma_f16 v222, v215, v83, -v222
	v_mul_f16_sdwa v215, v215, v83 dst_sel:DWORD dst_unused:UNUSED_PAD src0_sel:DWORD src1_sel:WORD_1
	v_fma_f16 v213, v213, v83, v215
	v_add_f16_e32 v215, v195, v210
	v_fma_f16 v215, v215, -0.5, v206
	v_add_f16_e32 v206, v206, v195
	v_add_f16_e32 v226, v200, v199
	;; [unrolled: 1-line block ×10, first 2 shown]
	v_fma_f16 v223, v223, -0.5, v207
	v_fma_f16 v224, v224, -0.5, v207
	v_add_f16_e32 v207, v207, v218
	v_pack_b32_f16 v206, v206, v226
	v_add_f16_e32 v226, v225, v202
	v_sub_f16_e32 v195, v201, v195
	v_sub_f16_e32 v201, v205, v210
	v_add_f16_e32 v207, v207, v220
	v_add_f16_e32 v226, v226, v209
	;; [unrolled: 1-line block ×6, first 2 shown]
	v_fma_f16 v200, v201, -0.5, v200
	v_sub_f16_e32 v199, v203, v199
	v_sub_f16_e32 v201, v208, v212
	v_add_f16_e32 v207, v207, v222
	v_add_f16_e32 v226, v226, v213
	;; [unrolled: 1-line block ×3, first 2 shown]
	v_sub_f16_e32 v201, v220, v218
	v_sub_f16_e32 v203, v221, v222
	v_pack_b32_f16 v207, v207, v226
	v_add_f16_e32 v201, v201, v203
	v_sub_f16_e32 v203, v209, v202
	v_sub_f16_e32 v205, v211, v213
	ds_write2_b32 v127, v206, v207 offset0:116 offset1:241
	v_add_f16_e32 v203, v203, v205
	v_fma_f16 v205, v198, s12, v215
	v_fma_f16 v206, v219, s0, v200
	;; [unrolled: 1-line block ×4, first 2 shown]
	v_add_f16_e32 v210, v202, v213
	v_fma_f16 v205, v195, s1, v205
	v_fma_f16 v206, v199, s1, v206
	v_sub_f16_e32 v207, v209, v211
	v_fma_f16 v210, v210, -0.5, v225
	v_sub_f16_e32 v226, v220, v221
	v_pack_b32_f16 v205, v205, v206
	v_sub_f16_e32 v206, v202, v213
	v_fma_f16 v208, v207, s12, v224
	v_sub_f16_e32 v212, v218, v222
	v_fma_f16 v227, v226, s0, v210
	v_fma_f16 v200, v219, s12, v200
	;; [unrolled: 1-line block ×9, first 2 shown]
	v_pack_b32_f16 v208, v208, v227
	v_fma_f16 v200, v206, s6, v200
	ds_write2_b32 v118, v205, v208 offset0:80 offset1:205
	v_fma_f16 v205, v198, s0, v215
	v_fma_f16 v200, v201, s1, v200
	;; [unrolled: 1-line block ×7, first 2 shown]
	v_pack_b32_f16 v195, v195, v199
	v_pack_b32_f16 v199, v200, v201
	ds_write2_b32 v139, v195, v199 offset0:62 offset1:187
	v_fma_f16 v195, v197, s12, v196
	v_fma_f16 v195, v198, s6, v195
	;; [unrolled: 1-line block ×3, first 2 shown]
	v_sub_f16_e32 v197, v218, v220
	v_sub_f16_e32 v198, v222, v221
	v_fma_f16 v196, v219, s7, v196
	v_add_f16_e32 v197, v197, v198
	v_add_f16_e32 v198, v209, v211
	v_fma_f16 v195, v214, s1, v195
	v_fma_f16 v196, v216, s1, v196
	v_fma_f16 v198, v198, -0.5, v225
	v_sub_f16_e32 v199, v202, v209
	v_sub_f16_e32 v200, v213, v211
	v_add_f16_e32 v199, v199, v200
	v_pack_b32_f16 v195, v195, v196
	v_fma_f16 v196, v206, s12, v223
	v_fma_f16 v200, v212, s0, v198
	;; [unrolled: 1-line block ×6, first 2 shown]
	v_pack_b32_f16 v196, v196, v200
	ds_write2_b32 v106, v195, v196 offset0:44 offset1:169
	v_fma_f16 v195, v206, s0, v223
	v_fma_f16 v196, v212, s12, v198
	;; [unrolled: 1-line block ×6, first 2 shown]
	v_pack_b32_f16 v195, v195, v196
	ds_write_b32 v142, v195 offset:5500
	s_waitcnt lgkmcnt(0)
	s_barrier
	global_load_dword v201, v[97:98], off offset:2712
	v_add_co_u32_e32 v97, vcc, s2, v147
	v_addc_co_u32_e32 v98, vcc, 0, v148, vcc
	global_load_dword v205, v[97:98], off offset:20
	global_load_dword v207, v[97:98], off offset:520
	s_movk_i32 s2, 0x6000
	v_add_co_u32_e32 v195, vcc, s2, v147
	v_addc_co_u32_e32 v196, vcc, 0, v148, vcc
	global_load_dword v209, v[195:196], off offset:924
	global_load_dword v211, v[195:196], off offset:1424
	s_movk_i32 s2, 0x3a98
	v_add_co_u32_e32 v197, vcc, s2, v147
	v_addc_co_u32_e32 v198, vcc, 0, v148, vcc
	global_load_dword v212, v[197:198], off offset:1500
	ds_read2_b32 v[199:200], v142 offset1:125
	global_load_dword v213, v[197:198], off offset:2000
	global_load_dword v214, v[197:198], off offset:500
	;; [unrolled: 1-line block ×7, first 2 shown]
	s_movk_i32 s2, 0x4000
	s_waitcnt lgkmcnt(0)
	v_lshrrev_b32_e32 v202, 16, v199
	s_waitcnt vmcnt(12)
	v_mul_f16_sdwa v203, v199, v201 dst_sel:DWORD dst_unused:UNUSED_PAD src0_sel:DWORD src1_sel:WORD_1
	v_fma_f16 v203, v202, v201, v203
	v_mul_f16_sdwa v202, v202, v201 dst_sel:DWORD dst_unused:UNUSED_PAD src0_sel:DWORD src1_sel:WORD_1
	v_fma_f16 v199, v199, v201, -v202
	v_pack_b32_f16 v199, v199, v203
	ds_write_b32 v142, v199
	global_load_dword v199, v[195:196], off offset:2424
	ds_read2_b32 v[201:202], v145 offset0:98 offset1:223
	global_load_dword v220, v[97:98], off offset:1020
	global_load_dword v221, v[97:98], off offset:1520
	;; [unrolled: 1-line block ×4, first 2 shown]
	ds_read2_b32 v[203:204], v141 offset0:92 offset1:217
	s_waitcnt lgkmcnt(1)
	v_lshrrev_b32_e32 v206, 16, v202
	s_waitcnt vmcnt(16)
	v_mul_f16_sdwa v208, v202, v205 dst_sel:DWORD dst_unused:UNUSED_PAD src0_sel:DWORD src1_sel:WORD_1
	v_fma_f16 v208, v206, v205, v208
	v_mul_f16_sdwa v206, v206, v205 dst_sel:DWORD dst_unused:UNUSED_PAD src0_sel:DWORD src1_sel:WORD_1
	v_fma_f16 v202, v202, v205, -v206
	v_pack_b32_f16 v202, v202, v208
	s_waitcnt lgkmcnt(0)
	v_lshrrev_b32_e32 v208, 16, v203
	s_waitcnt vmcnt(15)
	v_mul_f16_sdwa v205, v203, v207 dst_sel:DWORD dst_unused:UNUSED_PAD src0_sel:DWORD src1_sel:WORD_1
	v_fma_f16 v210, v208, v207, v205
	v_mul_f16_sdwa v208, v208, v207 dst_sel:DWORD dst_unused:UNUSED_PAD src0_sel:DWORD src1_sel:WORD_1
	v_fma_f16 v203, v203, v207, -v208
	v_pack_b32_f16 v203, v203, v210
	ds_write2_b32 v162, v202, v203 offset0:95 offset1:220
	v_add_co_u32_e32 v202, vcc, s2, v147
	v_addc_co_u32_e32 v203, vcc, 0, v148, vcc
	ds_read2_b32 v[205:206], v143 offset0:68 offset1:193
	global_load_dword v224, v[202:203], off offset:3616
	global_load_dword v225, v[195:196], off offset:424
	;; [unrolled: 1-line block ×4, first 2 shown]
	s_movk_i32 s2, 0x7000
	v_add_co_u32_e32 v147, vcc, s2, v147
	s_waitcnt lgkmcnt(0)
	v_lshrrev_b32_e32 v162, 16, v206
	s_waitcnt vmcnt(18)
	v_mul_f16_sdwa v207, v206, v209 dst_sel:DWORD dst_unused:UNUSED_PAD src0_sel:DWORD src1_sel:WORD_1
	v_fma_f16 v210, v162, v209, v207
	ds_read2_b32 v[207:208], v139 offset0:62 offset1:187
	v_mul_f16_sdwa v162, v162, v209 dst_sel:DWORD dst_unused:UNUSED_PAD src0_sel:DWORD src1_sel:WORD_1
	v_fma_f16 v162, v206, v209, -v162
	v_pack_b32_f16 v162, v162, v210
	v_addc_co_u32_e32 v148, vcc, 0, v148, vcc
	s_waitcnt lgkmcnt(0)
	v_lshrrev_b32_e32 v206, 16, v207
	s_waitcnt vmcnt(17)
	v_mul_f16_sdwa v209, v207, v211 dst_sel:DWORD dst_unused:UNUSED_PAD src0_sel:DWORD src1_sel:WORD_1
	v_fma_f16 v228, v206, v211, v209
	ds_read2_b32 v[209:210], v138 offset0:122 offset1:247
	v_mul_f16_sdwa v206, v206, v211 dst_sel:DWORD dst_unused:UNUSED_PAD src0_sel:DWORD src1_sel:WORD_1
	v_fma_f16 v206, v207, v211, -v206
	v_pack_b32_f16 v206, v206, v228
	ds_write2_b32 v149, v162, v206 offset0:65 offset1:190
	global_load_dword v162, v[97:98], off offset:3520
	s_waitcnt lgkmcnt(1)
	v_lshrrev_b32_e32 v149, 16, v210
	s_waitcnt vmcnt(17)
	v_mul_f16_sdwa v206, v210, v212 dst_sel:DWORD dst_unused:UNUSED_PAD src0_sel:DWORD src1_sel:WORD_1
	v_fma_f16 v206, v149, v212, v206
	v_mul_f16_sdwa v149, v149, v212 dst_sel:DWORD dst_unused:UNUSED_PAD src0_sel:DWORD src1_sel:WORD_1
	v_fma_f16 v149, v210, v212, -v149
	v_pack_b32_f16 v149, v149, v206
	ds_read2_b32 v[206:207], v127 offset0:116 offset1:241
	global_load_dword v210, v[97:98], off offset:4020
	global_load_dword v211, v[147:148], off offset:828
	;; [unrolled: 1-line block ×3, first 2 shown]
	v_lshrrev_b32_e32 v147, 16, v208
	s_waitcnt vmcnt(13)
	v_mul_f16_sdwa v148, v147, v219 dst_sel:DWORD dst_unused:UNUSED_PAD src0_sel:DWORD src1_sel:WORD_1
	v_fma_f16 v148, v208, v219, -v148
	s_waitcnt lgkmcnt(0)
	v_lshrrev_b32_e32 v97, 16, v206
	v_mul_f16_sdwa v98, v206, v213 dst_sel:DWORD dst_unused:UNUSED_PAD src0_sel:DWORD src1_sel:WORD_1
	v_fma_f16 v98, v97, v213, v98
	v_mul_f16_sdwa v97, v97, v213 dst_sel:DWORD dst_unused:UNUSED_PAD src0_sel:DWORD src1_sel:WORD_1
	v_fma_f16 v97, v206, v213, -v97
	v_pack_b32_f16 v97, v97, v98
	v_add_u32_e32 v98, 0x400, v142
	ds_write2_b32 v98, v149, v97 offset0:119 offset1:244
	ds_read2_b32 v[97:98], v126 offset0:56 offset1:181
	v_mul_f16_sdwa v149, v208, v219 dst_sel:DWORD dst_unused:UNUSED_PAD src0_sel:DWORD src1_sel:WORD_1
	v_fma_f16 v147, v147, v219, v149
	v_pack_b32_f16 v147, v148, v147
	s_mov_b32 s2, 0xffff
	s_waitcnt lgkmcnt(0)
	v_lshrrev_b32_e32 v148, 16, v97
	s_waitcnt vmcnt(12)
	v_mul_f16_sdwa v149, v97, v199 dst_sel:DWORD dst_unused:UNUSED_PAD src0_sel:DWORD src1_sel:WORD_1
	v_fma_f16 v149, v148, v199, v149
	v_mul_f16_sdwa v148, v148, v199 dst_sel:DWORD dst_unused:UNUSED_PAD src0_sel:DWORD src1_sel:WORD_1
	v_fma_f16 v97, v97, v199, -v148
	v_pack_b32_f16 v97, v97, v149
	ds_write2_b32 v150, v147, v97 offset0:59 offset1:184
	ds_read2_b32 v[147:148], v119 offset0:110 offset1:235
	v_lshrrev_b32_e32 v97, 16, v207
	v_mul_f16_sdwa v149, v97, v216 dst_sel:DWORD dst_unused:UNUSED_PAD src0_sel:DWORD src1_sel:WORD_1
	v_mul_f16_sdwa v150, v207, v216 dst_sel:DWORD dst_unused:UNUSED_PAD src0_sel:DWORD src1_sel:WORD_1
	v_fma_f16 v149, v207, v216, -v149
	v_fma_f16 v97, v97, v216, v150
	v_pack_b32_f16 v97, v149, v97
	s_waitcnt lgkmcnt(0)
	v_lshrrev_b32_e32 v149, 16, v147
	v_mul_f16_sdwa v150, v147, v217 dst_sel:DWORD dst_unused:UNUSED_PAD src0_sel:DWORD src1_sel:WORD_1
	v_fma_f16 v199, v149, v217, v150
	v_mul_f16_sdwa v206, v149, v217 dst_sel:DWORD dst_unused:UNUSED_PAD src0_sel:DWORD src1_sel:WORD_1
	ds_read2_b32 v[149:150], v128 offset0:86 offset1:211
	v_fma_f16 v147, v147, v217, -v206
	v_pack_b32_f16 v147, v147, v199
	v_add_u32_e32 v199, 0x800, v142
	ds_write2_b32 v199, v97, v147 offset0:113 offset1:238
	ds_read2_b32 v[206:207], v118 offset0:80 offset1:205
	global_load_dword v199, v[195:196], off offset:2924
	s_waitcnt lgkmcnt(2)
	v_lshrrev_b32_e32 v97, 16, v150
	s_waitcnt vmcnt(10)
	v_mul_f16_sdwa v147, v150, v222 dst_sel:DWORD dst_unused:UNUSED_PAD src0_sel:DWORD src1_sel:WORD_1
	v_fma_f16 v147, v97, v222, v147
	v_mul_f16_sdwa v97, v97, v222 dst_sel:DWORD dst_unused:UNUSED_PAD src0_sel:DWORD src1_sel:WORD_1
	v_fma_f16 v97, v150, v222, -v97
	global_load_dword v150, v[195:196], off offset:3424
	v_pack_b32_f16 v97, v97, v147
	s_waitcnt lgkmcnt(0)
	v_lshrrev_b32_e32 v147, 16, v206
	s_waitcnt vmcnt(7)
	v_mul_f16_sdwa v195, v206, v226 dst_sel:DWORD dst_unused:UNUSED_PAD src0_sel:DWORD src1_sel:WORD_1
	v_fma_f16 v195, v147, v226, v195
	v_mul_f16_sdwa v147, v147, v226 dst_sel:DWORD dst_unused:UNUSED_PAD src0_sel:DWORD src1_sel:WORD_1
	v_fma_f16 v147, v206, v226, -v147
	v_pack_b32_f16 v147, v147, v195
	ds_write2_b32 v153, v97, v147 offset0:83 offset1:208
	v_lshrrev_b32_e32 v97, 16, v207
	s_waitcnt vmcnt(6)
	v_mul_f16_sdwa v147, v97, v227 dst_sel:DWORD dst_unused:UNUSED_PAD src0_sel:DWORD src1_sel:WORD_1
	v_mul_f16_sdwa v153, v207, v227 dst_sel:DWORD dst_unused:UNUSED_PAD src0_sel:DWORD src1_sel:WORD_1
	v_fma_f16 v147, v207, v227, -v147
	v_fma_f16 v97, v97, v227, v153
	ds_read2_b32 v[195:196], v109 offset0:74 offset1:199
	v_pack_b32_f16 v97, v147, v97
	global_load_dword v147, v[202:203], off offset:3116
	s_nop 0
	global_load_dword v202, v[197:198], off offset:4000
	s_waitcnt lgkmcnt(0)
	v_lshrrev_b32_e32 v153, 16, v195
	s_waitcnt vmcnt(7)
	v_mul_f16_sdwa v197, v195, v162 dst_sel:DWORD dst_unused:UNUSED_PAD src0_sel:DWORD src1_sel:WORD_1
	v_fma_f16 v203, v153, v162, v197
	ds_read2_b32 v[197:198], v116 offset0:50 offset1:175
	v_mul_f16_sdwa v153, v153, v162 dst_sel:DWORD dst_unused:UNUSED_PAD src0_sel:DWORD src1_sel:WORD_1
	v_fma_f16 v153, v195, v162, -v153
	v_pack_b32_f16 v153, v153, v203
	ds_write2_b32 v154, v97, v153 offset0:77 offset1:202
	ds_read2_b32 v[153:154], v106 offset0:44 offset1:169
	s_waitcnt lgkmcnt(2)
	v_lshrrev_b32_e32 v97, 16, v198
	v_mul_f16_sdwa v162, v198, v223 dst_sel:DWORD dst_unused:UNUSED_PAD src0_sel:DWORD src1_sel:WORD_1
	v_fma_f16 v162, v97, v223, v162
	v_mul_f16_sdwa v97, v97, v223 dst_sel:DWORD dst_unused:UNUSED_PAD src0_sel:DWORD src1_sel:WORD_1
	v_fma_f16 v97, v198, v223, -v97
	v_pack_b32_f16 v97, v97, v162
	s_waitcnt lgkmcnt(0)
	v_lshrrev_b32_e32 v162, 16, v153
	s_waitcnt vmcnt(4)
	v_mul_f16_sdwa v195, v153, v212 dst_sel:DWORD dst_unused:UNUSED_PAD src0_sel:DWORD src1_sel:WORD_1
	v_fma_f16 v195, v162, v212, v195
	v_mul_f16_sdwa v162, v162, v212 dst_sel:DWORD dst_unused:UNUSED_PAD src0_sel:DWORD src1_sel:WORD_1
	v_fma_f16 v153, v153, v212, -v162
	v_pack_b32_f16 v153, v153, v195
	ds_write2_b32 v152, v97, v153 offset0:47 offset1:172
	v_lshrrev_b32_e32 v97, 16, v201
	v_mul_f16_sdwa v153, v201, v224 dst_sel:DWORD dst_unused:UNUSED_PAD src0_sel:DWORD src1_sel:WORD_1
	v_mul_f16_sdwa v152, v97, v224 dst_sel:DWORD dst_unused:UNUSED_PAD src0_sel:DWORD src1_sel:WORD_1
	v_fma_f16 v153, v97, v224, v153
	v_lshrrev_b32_e32 v97, 16, v205
	v_mul_f16_sdwa v195, v205, v225 dst_sel:DWORD dst_unused:UNUSED_PAD src0_sel:DWORD src1_sel:WORD_1
	v_mul_f16_sdwa v162, v97, v225 dst_sel:DWORD dst_unused:UNUSED_PAD src0_sel:DWORD src1_sel:WORD_1
	v_fma_f16 v195, v97, v225, v195
	v_lshrrev_b32_e32 v97, 16, v200
	v_mul_f16_sdwa v198, v97, v214 dst_sel:DWORD dst_unused:UNUSED_PAD src0_sel:DWORD src1_sel:WORD_1
	v_fma_f16 v198, v200, v214, -v198
	v_mul_f16_sdwa v200, v200, v214 dst_sel:DWORD dst_unused:UNUSED_PAD src0_sel:DWORD src1_sel:WORD_1
	v_fma_f16 v97, v97, v214, v200
	v_lshrrev_b32_e32 v200, 16, v209
	v_fma_f16 v152, v201, v224, -v152
	v_mul_f16_sdwa v201, v200, v215 dst_sel:DWORD dst_unused:UNUSED_PAD src0_sel:DWORD src1_sel:WORD_1
	v_mul_f16_sdwa v203, v209, v215 dst_sel:DWORD dst_unused:UNUSED_PAD src0_sel:DWORD src1_sel:WORD_1
	v_fma_f16 v201, v209, v215, -v201
	v_fma_f16 v200, v200, v215, v203
	v_pack_b32_f16 v97, v198, v97
	v_pack_b32_f16 v198, v201, v200
	ds_write2_b32 v142, v97, v198 offset0:125 offset1:250
	v_lshrrev_b32_e32 v97, 16, v204
	v_mul_f16_sdwa v200, v204, v220 dst_sel:DWORD dst_unused:UNUSED_PAD src0_sel:DWORD src1_sel:WORD_1
	v_mul_f16_sdwa v198, v97, v220 dst_sel:DWORD dst_unused:UNUSED_PAD src0_sel:DWORD src1_sel:WORD_1
	v_fma_f16 v97, v97, v220, v200
	v_lshrrev_b32_e32 v200, 16, v149
	v_mul_f16_sdwa v201, v200, v221 dst_sel:DWORD dst_unused:UNUSED_PAD src0_sel:DWORD src1_sel:WORD_1
	v_fma_f16 v201, v149, v221, -v201
	v_mul_f16_sdwa v149, v149, v221 dst_sel:DWORD dst_unused:UNUSED_PAD src0_sel:DWORD src1_sel:WORD_1
	v_fma_f16 v198, v204, v220, -v198
	v_fma_f16 v149, v200, v221, v149
	v_pack_b32_f16 v97, v198, v97
	v_pack_b32_f16 v149, v201, v149
	ds_write2_b32 v144, v97, v149 offset0:89 offset1:214
	v_lshrrev_b32_e32 v97, 16, v98
	s_waitcnt vmcnt(3)
	v_mul_f16_sdwa v149, v97, v199 dst_sel:DWORD dst_unused:UNUSED_PAD src0_sel:DWORD src1_sel:WORD_1
	v_fma_f16 v149, v98, v199, -v149
	v_mul_f16_sdwa v98, v98, v199 dst_sel:DWORD dst_unused:UNUSED_PAD src0_sel:DWORD src1_sel:WORD_1
	v_fma_f16 v97, v97, v199, v98
	v_lshrrev_b32_e32 v98, 16, v197
	s_waitcnt vmcnt(2)
	v_mul_f16_sdwa v198, v98, v150 dst_sel:DWORD dst_unused:UNUSED_PAD src0_sel:DWORD src1_sel:WORD_1
	v_fma_f16 v198, v197, v150, -v198
	v_mul_f16_sdwa v197, v197, v150 dst_sel:DWORD dst_unused:UNUSED_PAD src0_sel:DWORD src1_sel:WORD_1
	v_fma_f16 v98, v98, v150, v197
	v_pack_b32_f16 v97, v149, v97
	v_pack_b32_f16 v98, v198, v98
	ds_write2_b32 v146, v97, v98 offset0:53 offset1:178
	ds_read2_b32 v[97:98], v110 offset0:104 offset1:229
	v_lshrrev_b32_e32 v149, 16, v148
	v_mul_f16_sdwa v150, v149, v218 dst_sel:DWORD dst_unused:UNUSED_PAD src0_sel:DWORD src1_sel:WORD_1
	v_fma_f16 v150, v148, v218, -v150
	v_mul_f16_sdwa v148, v148, v218 dst_sel:DWORD dst_unused:UNUSED_PAD src0_sel:DWORD src1_sel:WORD_1
	v_fma_f16 v148, v149, v218, v148
	v_pack_b32_f16 v148, v150, v148
	s_waitcnt lgkmcnt(0)
	v_lshrrev_b32_e32 v149, 16, v97
	s_waitcnt vmcnt(0)
	v_mul_f16_sdwa v150, v97, v202 dst_sel:DWORD dst_unused:UNUSED_PAD src0_sel:DWORD src1_sel:WORD_1
	v_fma_f16 v150, v149, v202, v150
	v_mul_f16_sdwa v149, v149, v202 dst_sel:DWORD dst_unused:UNUSED_PAD src0_sel:DWORD src1_sel:WORD_1
	v_fma_f16 v97, v97, v202, -v149
	v_pack_b32_f16 v97, v97, v150
	ds_write2_b32 v177, v148, v97 offset0:107 offset1:232
	v_lshrrev_b32_e32 v97, 16, v98
	v_mul_f16_sdwa v148, v97, v147 dst_sel:DWORD dst_unused:UNUSED_PAD src0_sel:DWORD src1_sel:WORD_1
	v_fma_f16 v148, v98, v147, -v148
	v_mul_f16_sdwa v98, v98, v147 dst_sel:DWORD dst_unused:UNUSED_PAD src0_sel:DWORD src1_sel:WORD_1
	v_fma_f16 v97, v97, v147, v98
	v_pack_b32_f16 v98, v152, v153
	v_pack_b32_f16 v97, v148, v97
	ds_write2_b32 v189, v97, v98 offset0:101 offset1:226
	v_lshrrev_b32_e32 v97, 16, v196
	v_mul_f16_sdwa v98, v97, v210 dst_sel:DWORD dst_unused:UNUSED_PAD src0_sel:DWORD src1_sel:WORD_1
	v_mul_f16_sdwa v147, v196, v210 dst_sel:DWORD dst_unused:UNUSED_PAD src0_sel:DWORD src1_sel:WORD_1
	v_fma_f16 v162, v205, v225, -v162
	v_fma_f16 v98, v196, v210, -v98
	v_fma_f16 v97, v97, v210, v147
	v_pack_b32_f16 v147, v162, v195
	v_pack_b32_f16 v97, v98, v97
	ds_write2_b32 v178, v97, v147 offset0:71 offset1:196
	v_lshrrev_b32_e32 v97, 16, v154
	v_mul_f16_sdwa v98, v97, v211 dst_sel:DWORD dst_unused:UNUSED_PAD src0_sel:DWORD src1_sel:WORD_1
	v_mul_f16_sdwa v147, v154, v211 dst_sel:DWORD dst_unused:UNUSED_PAD src0_sel:DWORD src1_sel:WORD_1
	v_fma_f16 v98, v154, v211, -v98
	v_fma_f16 v97, v97, v211, v147
	v_pack_b32_f16 v97, v98, v97
	ds_write_b32 v142, v97 offset:14500
	s_waitcnt lgkmcnt(0)
	s_barrier
	ds_read2_b32 v[97:98], v138 offset0:122 offset1:247
	ds_read2_b32 v[147:148], v141 offset0:92 offset1:217
	;; [unrolled: 1-line block ×3, first 2 shown]
	s_waitcnt lgkmcnt(1)
	v_pk_add_f16 v152, v97, v147
	s_waitcnt lgkmcnt(0)
	v_pk_add_f16 v154, v147, v149
	v_pk_add_f16 v162, v147, v149 neg_lo:[0,1] neg_hi:[0,1]
	v_pk_add_f16 v197, v98, v148
	v_pk_add_f16 v198, v148, v150
	v_pk_add_f16 v199, v148, v150 neg_lo:[0,1] neg_hi:[0,1]
	v_pk_add_f16 v200, v152, v149
	ds_read2_b32 v[147:148], v127 offset0:116 offset1:241
	ds_read2_b32 v[152:153], v128 offset0:86 offset1:211
	;; [unrolled: 1-line block ×3, first 2 shown]
	v_pk_fma_f16 v154, v154, 0.5, v97 op_sel_hi:[1,0,1] neg_lo:[1,0,0] neg_hi:[1,0,0]
	v_pk_add_f16 v201, v197, v150
	v_pk_fma_f16 v202, v198, 0.5, v98 op_sel_hi:[1,0,1] neg_lo:[1,0,0] neg_hi:[1,0,0]
	s_waitcnt lgkmcnt(1)
	v_pk_add_f16 v97, v147, v152
	s_waitcnt lgkmcnt(0)
	v_pk_add_f16 v197, v152, v195
	v_pk_add_f16 v203, v152, v195 neg_lo:[0,1] neg_hi:[0,1]
	v_pk_add_f16 v198, v148, v153
	v_pk_add_f16 v204, v153, v196
	v_pk_add_f16 v205, v153, v196 neg_lo:[0,1] neg_hi:[0,1]
	v_pk_add_f16 v206, v97, v195
	ds_read2_b32 v[97:98], v119 offset0:110 offset1:235
	ds_read2_b32 v[149:150], v118 offset0:80 offset1:205
	;; [unrolled: 1-line block ×3, first 2 shown]
	v_pk_add_f16 v207, v198, v196
	v_pk_fma_f16 v208, v197, 0.5, v147 op_sel_hi:[1,0,1] neg_lo:[1,0,0] neg_hi:[1,0,0]
	v_pk_fma_f16 v204, v204, 0.5, v148 op_sel_hi:[1,0,1] neg_lo:[1,0,0] neg_hi:[1,0,0]
	s_waitcnt lgkmcnt(1)
	v_pk_add_f16 v147, v97, v149
	s_waitcnt lgkmcnt(0)
	v_pk_add_f16 v197, v149, v152
	v_pk_add_f16 v198, v98, v150
	;; [unrolled: 1-line block ×3, first 2 shown]
	v_pk_add_f16 v209, v149, v152 neg_lo:[0,1] neg_hi:[0,1]
	v_pk_add_f16 v211, v150, v153 neg_lo:[0,1] neg_hi:[0,1]
	v_pk_add_f16 v212, v147, v152
	ds_read2_b32 v[147:148], v110 offset0:104 offset1:229
	ds_read2_b32 v[149:150], v109 offset0:74 offset1:199
	;; [unrolled: 1-line block ×3, first 2 shown]
	v_pk_add_f16 v213, v198, v153
	v_pk_fma_f16 v214, v197, 0.5, v97 op_sel_hi:[1,0,1] neg_lo:[1,0,0] neg_hi:[1,0,0]
	v_pk_fma_f16 v210, v210, 0.5, v98 op_sel_hi:[1,0,1] neg_lo:[1,0,0] neg_hi:[1,0,0]
	ds_read2_b32 v[97:98], v142 offset1:125
	ds_read2_b32 v[152:153], v145 offset0:98 offset1:223
	ds_read2_b32 v[197:198], v143 offset0:68 offset1:193
	s_waitcnt lgkmcnt(4)
	v_pk_add_f16 v215, v147, v149
	s_waitcnt lgkmcnt(3)
	v_pk_add_f16 v216, v149, v195
	v_pk_add_f16 v149, v149, v195 neg_lo:[0,1] neg_hi:[0,1]
	s_waitcnt lgkmcnt(1)
	v_pk_add_f16 v219, v97, v152
	s_waitcnt lgkmcnt(0)
	v_pk_add_f16 v220, v152, v197
	v_pk_add_f16 v152, v152, v197 neg_lo:[0,1] neg_hi:[0,1]
	v_pk_add_f16 v217, v148, v150
	v_pk_add_f16 v195, v215, v195
	;; [unrolled: 1-line block ×3, first 2 shown]
	v_pk_fma_f16 v97, v220, 0.5, v97 op_sel_hi:[1,0,1] neg_lo:[1,0,0] neg_hi:[1,0,0]
	v_pk_mul_f16 v152, v152, s14 op_sel_hi:[1,0]
	v_pk_add_f16 v218, v150, v196
	v_pk_add_f16 v150, v150, v196 neg_lo:[0,1] neg_hi:[0,1]
	v_pk_add_f16 v196, v217, v196
	v_pk_add_f16 v217, v153, v198
	v_pk_add_f16 v153, v153, v198 neg_lo:[0,1] neg_hi:[0,1]
	v_pk_add_f16 v198, v215, v198
	v_pk_add_f16 v215, v97, v152 op_sel:[0,1] op_sel_hi:[1,0] neg_lo:[0,1] neg_hi:[0,1]
	v_pk_add_f16 v97, v97, v152 op_sel:[0,1] op_sel_hi:[1,0]
	v_bfi_b32 v152, s2, v215, v97
	v_bfi_b32 v97, s2, v97, v215
	v_pk_add_f16 v197, v219, v197
	v_pk_fma_f16 v98, v217, 0.5, v98 op_sel_hi:[1,0,1] neg_lo:[1,0,0] neg_hi:[1,0,0]
	s_barrier
	ds_write_b32 v151, v97 offset:8
	v_pk_mul_f16 v97, v153, s14 op_sel_hi:[1,0]
	ds_write2_b32 v151, v197, v152 offset1:1
	v_pk_add_f16 v151, v98, v97 op_sel:[0,1] op_sel_hi:[1,0] neg_lo:[0,1] neg_hi:[0,1]
	v_pk_add_f16 v97, v98, v97 op_sel:[0,1] op_sel_hi:[1,0]
	v_bfi_b32 v98, s2, v151, v97
	v_bfi_b32 v97, s2, v97, v151
	ds_write_b32 v156, v97 offset:8
	v_pk_mul_f16 v97, v162, s14 op_sel_hi:[1,0]
	ds_write2_b32 v156, v198, v98 offset1:1
	v_pk_add_f16 v98, v154, v97 op_sel:[0,1] op_sel_hi:[1,0] neg_lo:[0,1] neg_hi:[0,1]
	v_pk_add_f16 v97, v154, v97 op_sel:[0,1] op_sel_hi:[1,0]
	v_bfi_b32 v151, s2, v98, v97
	v_bfi_b32 v97, s2, v97, v98
	ds_write_b32 v161, v97 offset:8
	v_pk_mul_f16 v97, v199, s14 op_sel_hi:[1,0]
	v_pk_add_f16 v98, v202, v97 op_sel:[0,1] op_sel_hi:[1,0] neg_lo:[0,1] neg_hi:[0,1]
	v_pk_add_f16 v97, v202, v97 op_sel:[0,1] op_sel_hi:[1,0]
	ds_write2_b32 v161, v200, v151 offset1:1
	v_bfi_b32 v151, s2, v98, v97
	v_bfi_b32 v97, s2, v97, v98
	ds_write_b32 v165, v97 offset:8
	v_pk_mul_f16 v97, v203, s14 op_sel_hi:[1,0]
	v_pk_add_f16 v98, v208, v97 op_sel:[0,1] op_sel_hi:[1,0] neg_lo:[0,1] neg_hi:[0,1]
	v_pk_add_f16 v97, v208, v97 op_sel:[0,1] op_sel_hi:[1,0]
	ds_write2_b32 v165, v201, v151 offset1:1
	;; [unrolled: 7-line block ×5, first 2 shown]
	v_bfi_b32 v151, s2, v98, v97
	v_bfi_b32 v97, s2, v97, v98
	ds_write_b32 v169, v97 offset:8
	v_pk_fma_f16 v97, v216, 0.5, v147 op_sel_hi:[1,0,1] neg_lo:[1,0,0] neg_hi:[1,0,0]
	v_pk_mul_f16 v98, v149, s14 op_sel_hi:[1,0]
	v_pk_add_f16 v147, v97, v98 op_sel:[0,1] op_sel_hi:[1,0] neg_lo:[0,1] neg_hi:[0,1]
	v_pk_add_f16 v97, v97, v98 op_sel:[0,1] op_sel_hi:[1,0]
	v_bfi_b32 v98, s2, v147, v97
	v_bfi_b32 v97, s2, v97, v147
	ds_write2_b32 v169, v213, v151 offset1:1
	ds_write2_b32 v164, v195, v98 offset1:1
	ds_write_b32 v164, v97 offset:8
	v_pk_fma_f16 v97, v218, 0.5, v148 op_sel_hi:[1,0,1] neg_lo:[1,0,0] neg_hi:[1,0,0]
	v_pk_mul_f16 v98, v150, s14 op_sel_hi:[1,0]
	v_pk_add_f16 v147, v97, v98 op_sel:[0,1] op_sel_hi:[1,0] neg_lo:[0,1] neg_hi:[0,1]
	v_pk_add_f16 v97, v97, v98 op_sel:[0,1] op_sel_hi:[1,0]
	v_bfi_b32 v98, s2, v147, v97
	v_bfi_b32 v97, s2, v97, v147
	ds_write2_b32 v163, v196, v98 offset1:1
	ds_write_b32 v163, v97 offset:8
	s_waitcnt lgkmcnt(0)
	s_barrier
	ds_read2_b32 v[97:98], v119 offset0:110 offset1:235
	ds_read2_b32 v[147:148], v141 offset0:92 offset1:217
	;; [unrolled: 1-line block ×3, first 2 shown]
	s_mov_b32 s2, 0xb4f2
	s_waitcnt lgkmcnt(2)
	v_lshrrev_b32_e32 v149, 16, v97
	v_mul_f16_sdwa v150, v0, v97 dst_sel:DWORD dst_unused:UNUSED_PAD src0_sel:WORD_1 src1_sel:DWORD
	v_fma_f16 v169, v0, v149, -v150
	v_mul_f16_sdwa v149, v0, v149 dst_sel:DWORD dst_unused:UNUSED_PAD src0_sel:WORD_1 src1_sel:DWORD
	v_fma_f16 v197, v0, v97, v149
	s_waitcnt lgkmcnt(1)
	v_lshrrev_b32_e32 v0, 16, v147
	ds_read2_b32 v[149:150], v109 offset0:74 offset1:199
	v_mul_f16_sdwa v97, v1, v147 dst_sel:DWORD dst_unused:UNUSED_PAD src0_sel:WORD_1 src1_sel:DWORD
	v_fma_f16 v196, v1, v0, -v97
	v_mul_f16_sdwa v0, v1, v0 dst_sel:DWORD dst_unused:UNUSED_PAD src0_sel:WORD_1 src1_sel:DWORD
	v_fma_f16 v199, v1, v147, v0
	ds_read2_b32 v[0:1], v126 offset0:56 offset1:181
	s_waitcnt lgkmcnt(1)
	v_lshrrev_b32_e32 v97, 16, v149
	v_mul_f16_sdwa v147, v2, v149 dst_sel:DWORD dst_unused:UNUSED_PAD src0_sel:WORD_1 src1_sel:DWORD
	v_fma_f16 v198, v2, v97, -v147
	v_mul_f16_sdwa v97, v2, v97 dst_sel:DWORD dst_unused:UNUSED_PAD src0_sel:WORD_1 src1_sel:DWORD
	v_fma_f16 v201, v2, v149, v97
	s_waitcnt lgkmcnt(0)
	v_lshrrev_b32_e32 v2, 16, v0
	v_mul_f16_sdwa v97, v3, v0 dst_sel:DWORD dst_unused:UNUSED_PAD src0_sel:WORD_1 src1_sel:DWORD
	v_fma_f16 v200, v3, v2, -v97
	v_mul_f16_sdwa v2, v3, v2 dst_sel:DWORD dst_unused:UNUSED_PAD src0_sel:WORD_1 src1_sel:DWORD
	v_fma_f16 v202, v3, v0, v2
	v_lshrrev_b32_e32 v0, 16, v98
	v_mul_f16_sdwa v2, v4, v0 dst_sel:DWORD dst_unused:UNUSED_PAD src0_sel:WORD_1 src1_sel:DWORD
	v_fma_f16 v163, v4, v98, v2
	v_mul_f16_sdwa v2, v4, v98 dst_sel:DWORD dst_unused:UNUSED_PAD src0_sel:WORD_1 src1_sel:DWORD
	v_fma_f16 v156, v4, v0, -v2
	v_lshrrev_b32_e32 v0, 16, v148
	v_mul_f16_sdwa v2, v5, v0 dst_sel:DWORD dst_unused:UNUSED_PAD src0_sel:WORD_1 src1_sel:DWORD
	v_fma_f16 v166, v5, v148, v2
	v_mul_f16_sdwa v2, v5, v148 dst_sel:DWORD dst_unused:UNUSED_PAD src0_sel:WORD_1 src1_sel:DWORD
	v_fma_f16 v162, v5, v0, -v2
	v_lshrrev_b32_e32 v0, 16, v150
	v_mul_f16_sdwa v2, v6, v0 dst_sel:DWORD dst_unused:UNUSED_PAD src0_sel:WORD_1 src1_sel:DWORD
	v_fma_f16 v167, v6, v150, v2
	v_mul_f16_sdwa v2, v6, v150 dst_sel:DWORD dst_unused:UNUSED_PAD src0_sel:WORD_1 src1_sel:DWORD
	v_fma_f16 v164, v6, v0, -v2
	v_lshrrev_b32_e32 v0, 16, v1
	ds_read2_b32 v[2:3], v110 offset0:104 offset1:229
	v_mul_f16_sdwa v4, v7, v0 dst_sel:DWORD dst_unused:UNUSED_PAD src0_sel:WORD_1 src1_sel:DWORD
	v_fma_f16 v195, v7, v1, v4
	v_mul_f16_sdwa v1, v7, v1 dst_sel:DWORD dst_unused:UNUSED_PAD src0_sel:WORD_1 src1_sel:DWORD
	v_fma_f16 v168, v7, v0, -v1
	ds_read2_b32 v[0:1], v128 offset0:86 offset1:211
	s_waitcnt lgkmcnt(1)
	v_lshrrev_b32_e32 v4, 16, v2
	v_mul_f16_sdwa v5, v36, v2 dst_sel:DWORD dst_unused:UNUSED_PAD src0_sel:WORD_1 src1_sel:DWORD
	v_fma_f16 v148, v36, v4, -v5
	v_mul_f16_sdwa v4, v36, v4 dst_sel:DWORD dst_unused:UNUSED_PAD src0_sel:WORD_1 src1_sel:DWORD
	v_fma_f16 v151, v36, v2, v4
	ds_read2_b32 v[4:5], v143 offset0:68 offset1:193
	s_waitcnt lgkmcnt(1)
	v_lshrrev_b32_e32 v2, 16, v0
	v_mul_f16_sdwa v6, v37, v0 dst_sel:DWORD dst_unused:UNUSED_PAD src0_sel:WORD_1 src1_sel:DWORD
	v_fma_f16 v150, v37, v2, -v6
	ds_read2_b32 v[6:7], v116 offset0:50 offset1:175
	v_mul_f16_sdwa v2, v37, v2 dst_sel:DWORD dst_unused:UNUSED_PAD src0_sel:WORD_1 src1_sel:DWORD
	v_fma_f16 v153, v37, v0, v2
	s_waitcnt lgkmcnt(1)
	v_lshrrev_b32_e32 v0, 16, v4
	v_mul_f16_sdwa v2, v38, v4 dst_sel:DWORD dst_unused:UNUSED_PAD src0_sel:WORD_1 src1_sel:DWORD
	v_fma_f16 v152, v38, v0, -v2
	v_mul_f16_sdwa v0, v38, v0 dst_sel:DWORD dst_unused:UNUSED_PAD src0_sel:WORD_1 src1_sel:DWORD
	v_fma_f16 v161, v38, v4, v0
	s_waitcnt lgkmcnt(0)
	v_lshrrev_b32_e32 v0, 16, v6
	v_mul_f16_sdwa v2, v39, v6 dst_sel:DWORD dst_unused:UNUSED_PAD src0_sel:WORD_1 src1_sel:DWORD
	v_fma_f16 v154, v39, v0, -v2
	v_mul_f16_sdwa v0, v39, v0 dst_sel:DWORD dst_unused:UNUSED_PAD src0_sel:WORD_1 src1_sel:DWORD
	v_fma_f16 v165, v39, v6, v0
	v_lshrrev_b32_e32 v0, 16, v3
	v_mul_f16_sdwa v2, v32, v0 dst_sel:DWORD dst_unused:UNUSED_PAD src0_sel:WORD_1 src1_sel:DWORD
	v_fma_f16 v38, v32, v3, v2
	v_mul_f16_sdwa v2, v32, v3 dst_sel:DWORD dst_unused:UNUSED_PAD src0_sel:WORD_1 src1_sel:DWORD
	v_fma_f16 v36, v32, v0, -v2
	v_lshrrev_b32_e32 v0, 16, v1
	v_mul_f16_sdwa v2, v33, v0 dst_sel:DWORD dst_unused:UNUSED_PAD src0_sel:WORD_1 src1_sel:DWORD
	v_fma_f16 v97, v33, v1, v2
	v_mul_f16_sdwa v1, v33, v1 dst_sel:DWORD dst_unused:UNUSED_PAD src0_sel:WORD_1 src1_sel:DWORD
	v_fma_f16 v37, v33, v0, -v1
	;; [unrolled: 5-line block ×3, first 2 shown]
	ds_read2_b32 v[0:1], v145 offset0:98 offset1:223
	v_lshrrev_b32_e32 v2, 16, v7
	v_mul_f16_sdwa v3, v35, v2 dst_sel:DWORD dst_unused:UNUSED_PAD src0_sel:WORD_1 src1_sel:DWORD
	v_fma_f16 v149, v35, v7, v3
	v_mul_f16_sdwa v3, v35, v7 dst_sel:DWORD dst_unused:UNUSED_PAD src0_sel:WORD_1 src1_sel:DWORD
	v_fma_f16 v147, v35, v2, -v3
	s_waitcnt lgkmcnt(0)
	v_lshrrev_b32_e32 v4, 16, v0
	ds_read2_b32 v[2:3], v118 offset0:80 offset1:205
	v_mul_f16_sdwa v5, v28, v0 dst_sel:DWORD dst_unused:UNUSED_PAD src0_sel:WORD_1 src1_sel:DWORD
	v_fma_f16 v32, v28, v4, -v5
	v_mul_f16_sdwa v4, v28, v4 dst_sel:DWORD dst_unused:UNUSED_PAD src0_sel:WORD_1 src1_sel:DWORD
	v_fma_f16 v33, v28, v0, v4
	ds_read2_b32 v[4:5], v139 offset0:62 offset1:187
	s_waitcnt lgkmcnt(1)
	v_lshrrev_b32_e32 v0, 16, v2
	v_mul_f16_sdwa v6, v29, v2 dst_sel:DWORD dst_unused:UNUSED_PAD src0_sel:WORD_1 src1_sel:DWORD
	v_fma_f16 v28, v29, v0, -v6
	v_mul_f16_sdwa v0, v29, v0 dst_sel:DWORD dst_unused:UNUSED_PAD src0_sel:WORD_1 src1_sel:DWORD
	v_fma_f16 v34, v29, v2, v0
	s_waitcnt lgkmcnt(0)
	v_lshrrev_b32_e32 v0, 16, v4
	v_mul_f16_sdwa v2, v30, v4 dst_sel:DWORD dst_unused:UNUSED_PAD src0_sel:WORD_1 src1_sel:DWORD
	v_fma_f16 v29, v30, v0, -v2
	v_mul_f16_sdwa v0, v30, v0 dst_sel:DWORD dst_unused:UNUSED_PAD src0_sel:WORD_1 src1_sel:DWORD
	v_fma_f16 v35, v30, v4, v0
	v_lshrrev_b32_e32 v0, 16, v203
	v_mul_f16_sdwa v2, v31, v203 dst_sel:DWORD dst_unused:UNUSED_PAD src0_sel:WORD_1 src1_sel:DWORD
	v_fma_f16 v30, v31, v0, -v2
	v_mul_f16_sdwa v0, v31, v0 dst_sel:DWORD dst_unused:UNUSED_PAD src0_sel:WORD_1 src1_sel:DWORD
	v_fma_f16 v31, v31, v203, v0
	v_lshrrev_b32_e32 v0, 16, v1
	v_mul_f16_sdwa v2, v20, v0 dst_sel:DWORD dst_unused:UNUSED_PAD src0_sel:WORD_1 src1_sel:DWORD
	v_fma_f16 v2, v20, v1, v2
	v_mul_f16_sdwa v1, v20, v1 dst_sel:DWORD dst_unused:UNUSED_PAD src0_sel:WORD_1 src1_sel:DWORD
	v_fma_f16 v0, v20, v0, -v1
	v_lshrrev_b32_e32 v1, 16, v3
	v_mul_f16_sdwa v4, v21, v1 dst_sel:DWORD dst_unused:UNUSED_PAD src0_sel:WORD_1 src1_sel:DWORD
	v_fma_f16 v4, v21, v3, v4
	v_mul_f16_sdwa v3, v21, v3 dst_sel:DWORD dst_unused:UNUSED_PAD src0_sel:WORD_1 src1_sel:DWORD
	v_fma_f16 v1, v21, v1, -v3
	;; [unrolled: 5-line block ×3, first 2 shown]
	v_lshrrev_b32_e32 v5, 16, v204
	v_mul_f16_sdwa v20, v23, v204 dst_sel:DWORD dst_unused:UNUSED_PAD src0_sel:WORD_1 src1_sel:DWORD
	v_mul_f16_sdwa v7, v23, v5 dst_sel:DWORD dst_unused:UNUSED_PAD src0_sel:WORD_1 src1_sel:DWORD
	v_fma_f16 v5, v23, v5, -v20
	ds_read2_b32 v[20:21], v142 offset1:125
	v_fma_f16 v7, v23, v204, v7
	v_sub_f16_e32 v22, v197, v199
	v_sub_f16_e32 v23, v202, v201
	v_add_f16_e32 v205, v22, v23
	v_sub_f16_e32 v22, v169, v196
	v_sub_f16_e32 v23, v200, v198
	s_waitcnt lgkmcnt(0)
	v_lshrrev_b32_e32 v207, 16, v20
	v_add_f16_e32 v206, v22, v23
	v_add_f16_e32 v22, v20, v197
	;; [unrolled: 1-line block ×9, first 2 shown]
	v_pack_b32_f16 v208, v22, v23
	v_add_f16_e32 v22, v199, v201
	v_sub_f16_e32 v213, v197, v202
	v_sub_f16_e32 v214, v199, v201
	;; [unrolled: 1-line block ×3, first 2 shown]
	v_add_f16_e32 v197, v197, v202
	v_fma_f16 v209, v22, -0.5, v20
	v_sub_f16_e32 v211, v196, v198
	v_fma_f16 v20, v197, -0.5, v20
	v_sub_f16_e32 v210, v169, v200
	v_sub_f16_e32 v201, v201, v202
	v_fma_f16 v197, v211, s0, v20
	v_fma_f16 v20, v211, s12, v20
	v_add_f16_e32 v199, v199, v201
	v_fma_f16 v197, v210, s6, v197
	v_fma_f16 v20, v210, s7, v20
	v_fma_f16 v197, v199, s1, v197
	v_fma_f16 v20, v199, s1, v20
	v_add_f16_e32 v199, v169, v200
	v_add_f16_e32 v23, v196, v198
	v_fma_f16 v199, v199, -0.5, v207
	v_sub_f16_e32 v169, v196, v169
	v_sub_f16_e32 v196, v198, v200
	v_fma_f16 v212, v23, -0.5, v207
	v_add_f16_e32 v169, v169, v196
	v_fma_f16 v196, v214, s12, v199
	v_fma_f16 v198, v214, s0, v199
	;; [unrolled: 1-line block ×12, first 2 shown]
	v_pack_b32_f16 v196, v197, v196
	v_pack_b32_f16 v20, v20, v169
	;; [unrolled: 1-line block ×3, first 2 shown]
	ds_read2_b32 v[22:23], v138 offset0:122 offset1:247
	ds_read2_b32 v[203:204], v127 offset0:116 offset1:241
	s_waitcnt lgkmcnt(0)
	s_barrier
	ds_write2_b32 v155, v196, v20 offset0:6 offset1:9
	v_fma_f16 v20, v210, s0, v209
	v_fma_f16 v169, v213, s12, v212
	v_fma_f16 v20, v211, s7, v20
	v_fma_f16 v169, v214, s6, v169
	v_fma_f16 v20, v205, s1, v20
	v_fma_f16 v169, v206, s1, v169
	v_pack_b32_f16 v20, v20, v169
	v_sub_f16_e32 v196, v163, v166
	v_sub_f16_e32 v197, v195, v167
	ds_write2_b32 v155, v208, v215 offset1:3
	ds_write_b32 v155, v20 offset:48
	v_add_f16_e32 v20, v166, v167
	v_add_f16_e32 v155, v163, v195
	v_lshrrev_b32_e32 v169, 16, v21
	v_add_f16_e32 v196, v196, v197
	v_sub_f16_e32 v197, v156, v162
	v_sub_f16_e32 v198, v168, v164
	v_fma_f16 v20, v20, -0.5, v21
	v_fma_f16 v155, v155, -0.5, v21
	v_add_f16_e32 v21, v21, v163
	v_add_f16_e32 v197, v197, v198
	;; [unrolled: 1-line block ×10, first 2 shown]
	v_pack_b32_f16 v21, v21, v198
	v_sub_f16_e32 v198, v156, v168
	v_fma_f16 v201, v201, -0.5, v169
	v_sub_f16_e32 v202, v163, v195
	v_fma_f16 v199, v198, s12, v20
	v_sub_f16_e32 v200, v162, v164
	v_fma_f16 v205, v202, s0, v201
	;; [unrolled: 2-line block ×3, first 2 shown]
	v_fma_f16 v205, v206, s7, v205
	v_fma_f16 v199, v196, s1, v199
	;; [unrolled: 1-line block ×3, first 2 shown]
	v_pack_b32_f16 v199, v199, v205
	ds_write2_b32 v160, v21, v199 offset1:3
	v_sub_f16_e32 v21, v166, v163
	v_sub_f16_e32 v163, v167, v195
	v_add_f16_e32 v21, v21, v163
	v_fma_f16 v163, v200, s0, v155
	v_fma_f16 v155, v200, s12, v155
	;; [unrolled: 1-line block ×6, first 2 shown]
	v_add_f16_e32 v155, v156, v168
	v_fma_f16 v155, v155, -0.5, v169
	v_sub_f16_e32 v156, v162, v156
	v_sub_f16_e32 v162, v164, v168
	v_add_f16_e32 v156, v156, v162
	v_fma_f16 v162, v206, s12, v155
	v_fma_f16 v155, v206, s0, v155
	;; [unrolled: 1-line block ×6, first 2 shown]
	v_pack_b32_f16 v156, v163, v162
	v_pack_b32_f16 v21, v21, v155
	ds_write2_b32 v160, v156, v21 offset0:6 offset1:9
	v_fma_f16 v20, v198, s0, v20
	v_fma_f16 v21, v202, s12, v201
	;; [unrolled: 1-line block ×6, first 2 shown]
	v_pack_b32_f16 v20, v20, v21
	ds_write_b32 v160, v20 offset:48
	v_sub_f16_e32 v20, v151, v153
	v_sub_f16_e32 v21, v165, v161
	v_add_f16_e32 v20, v20, v21
	v_sub_f16_e32 v21, v148, v150
	v_sub_f16_e32 v155, v154, v152
	v_lshrrev_b32_e32 v156, 16, v22
	v_add_f16_e32 v21, v21, v155
	v_add_f16_e32 v155, v22, v151
	;; [unrolled: 1-line block ×9, first 2 shown]
	v_pack_b32_f16 v155, v155, v160
	v_add_f16_e32 v160, v153, v161
	v_add_f16_e32 v166, v150, v152
	v_fma_f16 v160, v160, -0.5, v22
	v_sub_f16_e32 v162, v148, v154
	v_fma_f16 v166, v166, -0.5, v156
	v_sub_f16_e32 v167, v151, v165
	v_fma_f16 v163, v162, s12, v160
	v_sub_f16_e32 v164, v150, v152
	v_fma_f16 v168, v167, s0, v166
	v_sub_f16_e32 v169, v153, v161
	v_fma_f16 v163, v164, s6, v163
	v_fma_f16 v168, v169, s7, v168
	v_fma_f16 v163, v20, s1, v163
	;; [unrolled: 1-line block ×3, first 2 shown]
	v_sub_f16_e32 v153, v153, v151
	v_add_f16_e32 v151, v151, v165
	v_pack_b32_f16 v163, v163, v168
	v_fma_f16 v22, v151, -0.5, v22
	ds_write2_b32 v170, v155, v163 offset1:3
	v_sub_f16_e32 v155, v161, v165
	v_fma_f16 v151, v164, s0, v22
	v_fma_f16 v22, v164, s12, v22
	v_add_f16_e32 v153, v153, v155
	v_fma_f16 v151, v162, s6, v151
	v_fma_f16 v22, v162, s7, v22
	;; [unrolled: 1-line block ×4, first 2 shown]
	v_add_f16_e32 v153, v148, v154
	v_fma_f16 v153, v153, -0.5, v156
	v_sub_f16_e32 v148, v150, v148
	v_sub_f16_e32 v150, v152, v154
	v_add_f16_e32 v148, v148, v150
	v_fma_f16 v150, v169, s12, v153
	v_fma_f16 v152, v169, s0, v153
	;; [unrolled: 1-line block ×6, first 2 shown]
	v_pack_b32_f16 v150, v151, v150
	v_pack_b32_f16 v22, v22, v148
	ds_write2_b32 v170, v150, v22 offset0:6 offset1:9
	v_fma_f16 v22, v162, s0, v160
	v_fma_f16 v22, v164, s7, v22
	;; [unrolled: 1-line block ×6, first 2 shown]
	v_pack_b32_f16 v20, v20, v21
	v_sub_f16_e32 v148, v38, v97
	v_sub_f16_e32 v150, v149, v98
	ds_write_b32 v170, v20 offset:48
	v_add_f16_e32 v20, v97, v98
	v_add_f16_e32 v21, v38, v149
	v_lshrrev_b32_e32 v22, 16, v23
	v_add_f16_e32 v148, v148, v150
	v_sub_f16_e32 v150, v36, v37
	v_sub_f16_e32 v151, v147, v39
	v_fma_f16 v20, v20, -0.5, v23
	v_fma_f16 v21, v21, -0.5, v23
	v_add_f16_e32 v23, v23, v38
	v_add_f16_e32 v150, v150, v151
	;; [unrolled: 1-line block ×10, first 2 shown]
	v_pack_b32_f16 v23, v23, v151
	v_sub_f16_e32 v151, v36, v147
	v_fma_f16 v154, v154, -0.5, v22
	v_sub_f16_e32 v155, v38, v149
	v_fma_f16 v152, v151, s12, v20
	v_sub_f16_e32 v153, v37, v39
	v_fma_f16 v156, v155, s0, v154
	v_sub_f16_e32 v160, v97, v98
	v_fma_f16 v152, v153, s6, v152
	v_fma_f16 v156, v160, s7, v156
	v_fma_f16 v152, v148, s1, v152
	;; [unrolled: 1-line block ×3, first 2 shown]
	v_pack_b32_f16 v152, v152, v156
	ds_write2_b32 v172, v23, v152 offset1:3
	v_sub_f16_e32 v23, v97, v38
	v_sub_f16_e32 v38, v98, v149
	v_add_f16_e32 v23, v23, v38
	v_fma_f16 v38, v153, s0, v21
	v_fma_f16 v21, v153, s12, v21
	v_fma_f16 v38, v151, s6, v38
	v_fma_f16 v21, v151, s7, v21
	v_fma_f16 v38, v23, s1, v38
	v_fma_f16 v21, v23, s1, v21
	v_add_f16_e32 v23, v36, v147
	v_fma_f16 v22, v23, -0.5, v22
	v_sub_f16_e32 v23, v37, v36
	v_sub_f16_e32 v36, v39, v147
	v_add_f16_e32 v23, v23, v36
	v_fma_f16 v36, v160, s12, v22
	v_fma_f16 v22, v160, s0, v22
	;; [unrolled: 1-line block ×6, first 2 shown]
	v_pack_b32_f16 v23, v38, v36
	v_pack_b32_f16 v21, v21, v22
	ds_write2_b32 v172, v23, v21 offset0:6 offset1:9
	v_fma_f16 v20, v151, s0, v20
	v_fma_f16 v21, v155, s12, v154
	;; [unrolled: 1-line block ×6, first 2 shown]
	v_pack_b32_f16 v20, v20, v21
	ds_write_b32 v172, v20 offset:48
	v_sub_f16_e32 v20, v33, v34
	v_sub_f16_e32 v21, v31, v35
	v_add_f16_e32 v20, v20, v21
	v_sub_f16_e32 v21, v32, v28
	v_sub_f16_e32 v22, v30, v29
	v_lshrrev_b32_e32 v23, 16, v203
	v_add_f16_e32 v21, v21, v22
	v_add_f16_e32 v22, v203, v33
	;; [unrolled: 1-line block ×9, first 2 shown]
	v_pack_b32_f16 v22, v22, v36
	v_add_f16_e32 v36, v34, v35
	v_add_f16_e32 v97, v28, v29
	v_fma_f16 v36, v36, -0.5, v203
	v_sub_f16_e32 v37, v32, v30
	v_fma_f16 v97, v97, -0.5, v23
	v_sub_f16_e32 v98, v33, v31
	v_fma_f16 v38, v37, s12, v36
	v_sub_f16_e32 v39, v28, v29
	v_fma_f16 v147, v98, s0, v97
	;; [unrolled: 2-line block ×3, first 2 shown]
	v_fma_f16 v147, v148, s7, v147
	v_fma_f16 v38, v20, s1, v38
	;; [unrolled: 1-line block ×3, first 2 shown]
	v_pack_b32_f16 v38, v38, v147
	ds_write2_b32 v180, v22, v38 offset1:3
	v_sub_f16_e32 v22, v34, v33
	v_add_f16_e32 v33, v33, v31
	v_sub_f16_e32 v31, v35, v31
	v_add_f16_e32 v22, v22, v31
	v_fma_f16 v31, v33, -0.5, v203
	v_fma_f16 v33, v39, s0, v31
	v_fma_f16 v31, v39, s12, v31
	;; [unrolled: 1-line block ×6, first 2 shown]
	v_add_f16_e32 v31, v32, v30
	v_fma_f16 v23, v31, -0.5, v23
	v_sub_f16_e32 v28, v28, v32
	v_sub_f16_e32 v29, v29, v30
	v_add_f16_e32 v28, v28, v29
	v_fma_f16 v29, v148, s12, v23
	v_fma_f16 v23, v148, s0, v23
	;; [unrolled: 1-line block ×6, first 2 shown]
	v_pack_b32_f16 v28, v33, v29
	v_pack_b32_f16 v22, v22, v23
	ds_write2_b32 v180, v28, v22 offset0:6 offset1:9
	v_fma_f16 v22, v37, s0, v36
	v_fma_f16 v22, v39, s7, v22
	;; [unrolled: 1-line block ×5, first 2 shown]
	v_sub_f16_e32 v28, v2, v4
	v_sub_f16_e32 v29, v7, v6
	v_fma_f16 v21, v21, s1, v22
	v_lshrrev_b32_e32 v22, 16, v204
	v_add_f16_e32 v28, v28, v29
	v_sub_f16_e32 v29, v0, v1
	v_sub_f16_e32 v30, v5, v3
	v_add_f16_e32 v23, v204, v2
	v_add_f16_e32 v29, v29, v30
	;; [unrolled: 1-line block ×5, first 2 shown]
	v_pack_b32_f16 v20, v20, v21
	v_add_f16_e32 v21, v2, v7
	v_add_f16_e32 v23, v23, v6
	;; [unrolled: 1-line block ×3, first 2 shown]
	ds_write_b32 v180, v20 offset:48
	v_add_f16_e32 v20, v4, v6
	v_fma_f16 v21, v21, -0.5, v204
	v_add_f16_e32 v23, v23, v7
	v_add_f16_e32 v30, v30, v5
	v_sub_f16_e32 v32, v1, v3
	v_sub_f16_e32 v34, v2, v7
	;; [unrolled: 1-line block ×5, first 2 shown]
	v_pack_b32_f16 v23, v23, v30
	v_sub_f16_e32 v30, v0, v5
	v_add_f16_e32 v2, v2, v4
	v_fma_f16 v4, v32, s0, v21
	v_fma_f16 v6, v32, s12, v21
	;; [unrolled: 1-line block ×6, first 2 shown]
	v_add_f16_e32 v6, v0, v5
	v_add_f16_e32 v33, v1, v3
	v_fma_f16 v6, v6, -0.5, v22
	v_sub_f16_e32 v0, v1, v0
	v_sub_f16_e32 v1, v3, v5
	v_add_f16_e32 v0, v0, v1
	v_fma_f16 v1, v36, s12, v6
	v_fma_f16 v3, v36, s0, v6
	;; [unrolled: 1-line block ×6, first 2 shown]
	v_fma_f16 v20, v20, -0.5, v204
	v_fma_f16 v33, v33, -0.5, v22
	v_pack_b32_f16 v1, v4, v1
	v_pack_b32_f16 v0, v2, v0
	v_fma_f16 v31, v30, s12, v20
	v_fma_f16 v35, v34, s0, v33
	ds_write2_b32 v181, v1, v0 offset0:6 offset1:9
	v_fma_f16 v0, v30, s0, v20
	v_fma_f16 v1, v34, s12, v33
	;; [unrolled: 1-line block ×10, first 2 shown]
	v_pack_b32_f16 v31, v31, v35
	v_pack_b32_f16 v0, v0, v1
	ds_write2_b32 v181, v23, v31 offset1:3
	ds_write_b32 v181, v0 offset:48
	s_waitcnt lgkmcnt(0)
	s_barrier
	ds_read2_b32 v[0:1], v119 offset0:110 offset1:235
	ds_read2_b32 v[2:3], v141 offset0:92 offset1:217
	s_waitcnt lgkmcnt(1)
	v_lshrrev_b32_e32 v4, 16, v0
	v_mul_f16_sdwa v5, v24, v0 dst_sel:DWORD dst_unused:UNUSED_PAD src0_sel:WORD_1 src1_sel:DWORD
	v_fma_f16 v151, v24, v4, -v5
	v_mul_f16_sdwa v4, v24, v4 dst_sel:DWORD dst_unused:UNUSED_PAD src0_sel:WORD_1 src1_sel:DWORD
	v_fma_f16 v154, v24, v0, v4
	ds_read2_b32 v[4:5], v109 offset0:74 offset1:199
	s_waitcnt lgkmcnt(1)
	v_lshrrev_b32_e32 v0, 16, v2
	v_mul_f16_sdwa v6, v25, v2 dst_sel:DWORD dst_unused:UNUSED_PAD src0_sel:WORD_1 src1_sel:DWORD
	v_fma_f16 v153, v25, v0, -v6
	ds_read2_b32 v[6:7], v126 offset0:56 offset1:181
	v_mul_f16_sdwa v0, v25, v0 dst_sel:DWORD dst_unused:UNUSED_PAD src0_sel:WORD_1 src1_sel:DWORD
	v_fma_f16 v156, v25, v2, v0
	s_waitcnt lgkmcnt(1)
	v_lshrrev_b32_e32 v0, 16, v4
	v_mul_f16_sdwa v2, v26, v4 dst_sel:DWORD dst_unused:UNUSED_PAD src0_sel:WORD_1 src1_sel:DWORD
	v_fma_f16 v155, v26, v0, -v2
	v_mul_f16_sdwa v0, v26, v0 dst_sel:DWORD dst_unused:UNUSED_PAD src0_sel:WORD_1 src1_sel:DWORD
	v_fma_f16 v161, v26, v4, v0
	s_waitcnt lgkmcnt(0)
	v_lshrrev_b32_e32 v0, 16, v6
	v_mul_f16_sdwa v2, v27, v6 dst_sel:DWORD dst_unused:UNUSED_PAD src0_sel:WORD_1 src1_sel:DWORD
	v_fma_f16 v160, v27, v0, -v2
	v_mul_f16_sdwa v0, v27, v0 dst_sel:DWORD dst_unused:UNUSED_PAD src0_sel:WORD_1 src1_sel:DWORD
	v_fma_f16 v162, v27, v6, v0
	v_lshrrev_b32_e32 v0, 16, v1
	v_mul_f16_sdwa v2, v16, v0 dst_sel:DWORD dst_unused:UNUSED_PAD src0_sel:WORD_1 src1_sel:DWORD
	v_fma_f16 v98, v16, v1, v2
	v_mul_f16_sdwa v1, v16, v1 dst_sel:DWORD dst_unused:UNUSED_PAD src0_sel:WORD_1 src1_sel:DWORD
	v_fma_f16 v38, v16, v0, -v1
	v_lshrrev_b32_e32 v0, 16, v3
	v_mul_f16_sdwa v1, v17, v0 dst_sel:DWORD dst_unused:UNUSED_PAD src0_sel:WORD_1 src1_sel:DWORD
	v_fma_f16 v148, v17, v3, v1
	v_mul_f16_sdwa v1, v17, v3 dst_sel:DWORD dst_unused:UNUSED_PAD src0_sel:WORD_1 src1_sel:DWORD
	v_fma_f16 v97, v17, v0, -v1
	v_lshrrev_b32_e32 v0, 16, v5
	v_mul_f16_sdwa v1, v18, v0 dst_sel:DWORD dst_unused:UNUSED_PAD src0_sel:WORD_1 src1_sel:DWORD
	v_fma_f16 v149, v18, v5, v1
	v_mul_f16_sdwa v1, v18, v5 dst_sel:DWORD dst_unused:UNUSED_PAD src0_sel:WORD_1 src1_sel:DWORD
	v_fma_f16 v147, v18, v0, -v1
	v_lshrrev_b32_e32 v2, 16, v7
	ds_read2_b32 v[0:1], v110 offset0:104 offset1:229
	v_mul_f16_sdwa v3, v19, v2 dst_sel:DWORD dst_unused:UNUSED_PAD src0_sel:WORD_1 src1_sel:DWORD
	v_fma_f16 v152, v19, v7, v3
	v_mul_f16_sdwa v3, v19, v7 dst_sel:DWORD dst_unused:UNUSED_PAD src0_sel:WORD_1 src1_sel:DWORD
	v_fma_f16 v150, v19, v2, -v3
	ds_read2_b32 v[2:3], v128 offset0:86 offset1:211
	s_waitcnt lgkmcnt(1)
	v_lshrrev_b32_e32 v4, 16, v0
	v_mul_f16_sdwa v5, v76, v0 dst_sel:DWORD dst_unused:UNUSED_PAD src0_sel:WORD_1 src1_sel:DWORD
	v_fma_f16 v31, v76, v4, -v5
	v_mul_f16_sdwa v4, v76, v4 dst_sel:DWORD dst_unused:UNUSED_PAD src0_sel:WORD_1 src1_sel:DWORD
	v_fma_f16 v34, v76, v0, v4
	ds_read2_b32 v[4:5], v143 offset0:68 offset1:193
	s_waitcnt lgkmcnt(1)
	v_lshrrev_b32_e32 v0, 16, v2
	v_mul_f16_sdwa v6, v77, v2 dst_sel:DWORD dst_unused:UNUSED_PAD src0_sel:WORD_1 src1_sel:DWORD
	v_fma_f16 v33, v77, v0, -v6
	ds_read2_b32 v[6:7], v116 offset0:50 offset1:175
	v_mul_f16_sdwa v0, v77, v0 dst_sel:DWORD dst_unused:UNUSED_PAD src0_sel:WORD_1 src1_sel:DWORD
	v_fma_f16 v36, v77, v2, v0
	s_waitcnt lgkmcnt(1)
	v_lshrrev_b32_e32 v0, 16, v4
	v_mul_f16_sdwa v2, v78, v4 dst_sel:DWORD dst_unused:UNUSED_PAD src0_sel:WORD_1 src1_sel:DWORD
	v_fma_f16 v35, v78, v0, -v2
	v_mul_f16_sdwa v0, v78, v0 dst_sel:DWORD dst_unused:UNUSED_PAD src0_sel:WORD_1 src1_sel:DWORD
	v_fma_f16 v39, v78, v4, v0
	s_waitcnt lgkmcnt(0)
	v_lshrrev_b32_e32 v0, 16, v6
	v_mul_f16_sdwa v2, v79, v6 dst_sel:DWORD dst_unused:UNUSED_PAD src0_sel:WORD_1 src1_sel:DWORD
	v_fma_f16 v37, v79, v0, -v2
	v_mul_f16_sdwa v0, v79, v0 dst_sel:DWORD dst_unused:UNUSED_PAD src0_sel:WORD_1 src1_sel:DWORD
	v_fma_f16 v76, v79, v6, v0
	v_lshrrev_b32_e32 v0, 16, v1
	v_mul_f16_sdwa v2, v72, v0 dst_sel:DWORD dst_unused:UNUSED_PAD src0_sel:WORD_1 src1_sel:DWORD
	v_fma_f16 v25, v72, v1, v2
	v_mul_f16_sdwa v1, v72, v1 dst_sel:DWORD dst_unused:UNUSED_PAD src0_sel:WORD_1 src1_sel:DWORD
	v_fma_f16 v22, v72, v0, -v1
	v_lshrrev_b32_e32 v0, 16, v3
	v_mul_f16_sdwa v1, v73, v0 dst_sel:DWORD dst_unused:UNUSED_PAD src0_sel:WORD_1 src1_sel:DWORD
	v_fma_f16 v28, v73, v3, v1
	v_mul_f16_sdwa v1, v73, v3 dst_sel:DWORD dst_unused:UNUSED_PAD src0_sel:WORD_1 src1_sel:DWORD
	v_fma_f16 v24, v73, v0, -v1
	v_lshrrev_b32_e32 v0, 16, v5
	v_mul_f16_sdwa v1, v74, v0 dst_sel:DWORD dst_unused:UNUSED_PAD src0_sel:WORD_1 src1_sel:DWORD
	v_fma_f16 v29, v74, v5, v1
	v_mul_f16_sdwa v1, v74, v5 dst_sel:DWORD dst_unused:UNUSED_PAD src0_sel:WORD_1 src1_sel:DWORD
	v_lshrrev_b32_e32 v2, 16, v7
	v_fma_f16 v26, v74, v0, -v1
	ds_read2_b32 v[0:1], v145 offset0:98 offset1:223
	v_mul_f16_sdwa v3, v75, v2 dst_sel:DWORD dst_unused:UNUSED_PAD src0_sel:WORD_1 src1_sel:DWORD
	v_fma_f16 v32, v75, v7, v3
	v_mul_f16_sdwa v3, v75, v7 dst_sel:DWORD dst_unused:UNUSED_PAD src0_sel:WORD_1 src1_sel:DWORD
	v_fma_f16 v30, v75, v2, -v3
	ds_read2_b32 v[2:3], v118 offset0:80 offset1:205
	s_waitcnt lgkmcnt(1)
	v_lshrrev_b32_e32 v4, 16, v0
	v_mul_f16_sdwa v5, v64, v0 dst_sel:DWORD dst_unused:UNUSED_PAD src0_sel:WORD_1 src1_sel:DWORD
	v_fma_f16 v16, v64, v4, -v5
	v_mul_f16_sdwa v4, v64, v4 dst_sel:DWORD dst_unused:UNUSED_PAD src0_sel:WORD_1 src1_sel:DWORD
	v_fma_f16 v18, v64, v0, v4
	s_waitcnt lgkmcnt(0)
	v_lshrrev_b32_e32 v0, 16, v2
	ds_read2_b32 v[6:7], v139 offset0:62 offset1:187
	v_mul_f16_sdwa v4, v65, v2 dst_sel:DWORD dst_unused:UNUSED_PAD src0_sel:WORD_1 src1_sel:DWORD
	v_fma_f16 v17, v65, v0, -v4
	v_mul_f16_sdwa v0, v65, v0 dst_sel:DWORD dst_unused:UNUSED_PAD src0_sel:WORD_1 src1_sel:DWORD
	v_fma_f16 v20, v65, v2, v0
	ds_read2_b32 v[64:65], v106 offset0:44 offset1:169
	s_waitcnt lgkmcnt(1)
	v_lshrrev_b32_e32 v0, 16, v6
	v_mul_f16_sdwa v2, v66, v6 dst_sel:DWORD dst_unused:UNUSED_PAD src0_sel:WORD_1 src1_sel:DWORD
	v_fma_f16 v19, v66, v0, -v2
	v_mul_f16_sdwa v0, v66, v0 dst_sel:DWORD dst_unused:UNUSED_PAD src0_sel:WORD_1 src1_sel:DWORD
	v_fma_f16 v23, v66, v6, v0
	s_waitcnt lgkmcnt(0)
	v_lshrrev_b32_e32 v0, 16, v64
	v_mul_f16_sdwa v2, v67, v64 dst_sel:DWORD dst_unused:UNUSED_PAD src0_sel:WORD_1 src1_sel:DWORD
	v_fma_f16 v21, v67, v0, -v2
	v_mul_f16_sdwa v0, v67, v0 dst_sel:DWORD dst_unused:UNUSED_PAD src0_sel:WORD_1 src1_sel:DWORD
	v_fma_f16 v27, v67, v64, v0
	v_lshrrev_b32_e32 v0, 16, v1
	v_mul_f16_sdwa v2, v60, v0 dst_sel:DWORD dst_unused:UNUSED_PAD src0_sel:WORD_1 src1_sel:DWORD
	v_fma_f16 v4, v60, v1, v2
	v_mul_f16_sdwa v1, v60, v1 dst_sel:DWORD dst_unused:UNUSED_PAD src0_sel:WORD_1 src1_sel:DWORD
	v_fma_f16 v0, v60, v0, -v1
	v_lshrrev_b32_e32 v1, 16, v3
	v_mul_f16_sdwa v2, v61, v1 dst_sel:DWORD dst_unused:UNUSED_PAD src0_sel:WORD_1 src1_sel:DWORD
	v_fma_f16 v5, v61, v3, v2
	v_mul_f16_sdwa v2, v61, v3 dst_sel:DWORD dst_unused:UNUSED_PAD src0_sel:WORD_1 src1_sel:DWORD
	v_fma_f16 v1, v61, v1, -v2
	;; [unrolled: 5-line block ×3, first 2 shown]
	v_lshrrev_b32_e32 v3, 16, v65
	v_mul_f16_sdwa v60, v63, v65 dst_sel:DWORD dst_unused:UNUSED_PAD src0_sel:WORD_1 src1_sel:DWORD
	v_mul_f16_sdwa v7, v63, v3 dst_sel:DWORD dst_unused:UNUSED_PAD src0_sel:WORD_1 src1_sel:DWORD
	v_fma_f16 v3, v63, v3, -v60
	ds_read2_b32 v[60:61], v142 offset1:125
	v_fma_f16 v7, v63, v65, v7
	v_sub_f16_e32 v62, v154, v156
	v_sub_f16_e32 v63, v162, v161
	v_add_f16_e32 v66, v62, v63
	v_sub_f16_e32 v62, v151, v153
	v_sub_f16_e32 v63, v160, v155
	s_waitcnt lgkmcnt(0)
	v_lshrrev_b32_e32 v72, 16, v60
	v_add_f16_e32 v67, v62, v63
	v_add_f16_e32 v62, v60, v154
	;; [unrolled: 1-line block ×9, first 2 shown]
	v_pack_b32_f16 v73, v62, v63
	v_add_f16_e32 v62, v156, v161
	v_add_f16_e32 v63, v153, v155
	v_fma_f16 v74, v62, -0.5, v60
	v_sub_f16_e32 v75, v151, v160
	v_fma_f16 v78, v63, -0.5, v72
	v_sub_f16_e32 v79, v154, v162
	v_fma_f16 v62, v75, s12, v74
	v_sub_f16_e32 v77, v153, v155
	v_fma_f16 v63, v79, s0, v78
	;; [unrolled: 2-line block ×3, first 2 shown]
	v_fma_f16 v63, v163, s7, v63
	v_fma_f16 v62, v66, s1, v62
	;; [unrolled: 1-line block ×3, first 2 shown]
	v_pack_b32_f16 v164, v62, v63
	ds_read2_b32 v[62:63], v138 offset0:122 offset1:247
	ds_read2_b32 v[64:65], v127 offset0:116 offset1:241
	s_waitcnt lgkmcnt(0)
	s_barrier
	ds_write2_b32 v179, v73, v164 offset1:15
	v_sub_f16_e32 v73, v156, v154
	v_add_f16_e32 v154, v154, v162
	v_fma_f16 v60, v154, -0.5, v60
	v_sub_f16_e32 v156, v161, v162
	v_fma_f16 v154, v77, s0, v60
	v_fma_f16 v60, v77, s12, v60
	v_add_f16_e32 v73, v73, v156
	v_fma_f16 v154, v75, s6, v154
	v_fma_f16 v60, v75, s7, v60
	;; [unrolled: 1-line block ×4, first 2 shown]
	v_add_f16_e32 v73, v151, v160
	v_fma_f16 v72, v73, -0.5, v72
	v_sub_f16_e32 v73, v153, v151
	v_sub_f16_e32 v151, v155, v160
	v_add_f16_e32 v73, v73, v151
	v_fma_f16 v151, v163, s12, v72
	v_fma_f16 v72, v163, s0, v72
	;; [unrolled: 1-line block ×6, first 2 shown]
	v_pack_b32_f16 v73, v154, v151
	v_pack_b32_f16 v60, v60, v72
	ds_write2_b32 v179, v73, v60 offset0:30 offset1:45
	v_fma_f16 v60, v75, s0, v74
	v_fma_f16 v60, v77, s7, v60
	;; [unrolled: 1-line block ×6, first 2 shown]
	v_pack_b32_f16 v60, v60, v66
	v_sub_f16_e32 v72, v98, v148
	v_sub_f16_e32 v73, v152, v149
	ds_write_b32 v179, v60 offset:240
	v_add_f16_e32 v60, v148, v149
	v_add_f16_e32 v66, v98, v152
	v_lshrrev_b32_e32 v67, 16, v61
	v_add_f16_e32 v72, v72, v73
	v_sub_f16_e32 v73, v38, v97
	v_sub_f16_e32 v74, v150, v147
	v_fma_f16 v60, v60, -0.5, v61
	v_fma_f16 v66, v66, -0.5, v61
	v_add_f16_e32 v61, v61, v98
	v_add_f16_e32 v73, v73, v74
	;; [unrolled: 1-line block ×10, first 2 shown]
	v_pack_b32_f16 v61, v61, v74
	v_sub_f16_e32 v74, v38, v150
	v_fma_f16 v78, v78, -0.5, v67
	v_sub_f16_e32 v79, v98, v152
	v_fma_f16 v75, v74, s12, v60
	v_sub_f16_e32 v77, v97, v147
	v_fma_f16 v151, v79, s0, v78
	;; [unrolled: 2-line block ×3, first 2 shown]
	v_fma_f16 v151, v153, s7, v151
	v_fma_f16 v75, v72, s1, v75
	;; [unrolled: 1-line block ×3, first 2 shown]
	v_pack_b32_f16 v75, v75, v151
	ds_write2_b32 v182, v61, v75 offset1:15
	v_sub_f16_e32 v61, v148, v98
	v_sub_f16_e32 v75, v149, v152
	v_add_f16_e32 v61, v61, v75
	v_fma_f16 v75, v77, s0, v66
	v_fma_f16 v66, v77, s12, v66
	;; [unrolled: 1-line block ×6, first 2 shown]
	v_add_f16_e32 v66, v38, v150
	v_fma_f16 v66, v66, -0.5, v67
	v_sub_f16_e32 v38, v97, v38
	v_sub_f16_e32 v67, v147, v150
	v_add_f16_e32 v38, v38, v67
	v_fma_f16 v67, v153, s12, v66
	v_fma_f16 v66, v153, s0, v66
	;; [unrolled: 1-line block ×6, first 2 shown]
	v_pack_b32_f16 v66, v75, v67
	v_pack_b32_f16 v38, v61, v38
	ds_write2_b32 v182, v66, v38 offset0:30 offset1:45
	v_fma_f16 v38, v74, s0, v60
	v_fma_f16 v60, v79, s12, v78
	;; [unrolled: 1-line block ×6, first 2 shown]
	v_pack_b32_f16 v38, v38, v60
	ds_write_b32 v182, v38 offset:240
	v_sub_f16_e32 v38, v34, v36
	v_sub_f16_e32 v60, v76, v39
	v_add_f16_e32 v38, v38, v60
	v_sub_f16_e32 v60, v31, v33
	v_sub_f16_e32 v61, v37, v35
	v_lshrrev_b32_e32 v66, 16, v62
	v_add_f16_e32 v60, v60, v61
	v_add_f16_e32 v61, v62, v34
	;; [unrolled: 1-line block ×9, first 2 shown]
	v_pack_b32_f16 v61, v61, v67
	v_add_f16_e32 v67, v36, v39
	v_sub_f16_e32 v77, v34, v76
	v_sub_f16_e32 v79, v36, v39
	;; [unrolled: 1-line block ×3, first 2 shown]
	v_add_f16_e32 v34, v34, v76
	v_sub_f16_e32 v74, v33, v35
	v_sub_f16_e32 v39, v39, v76
	v_fma_f16 v34, v34, -0.5, v62
	v_sub_f16_e32 v72, v31, v37
	v_add_f16_e32 v36, v36, v39
	v_fma_f16 v39, v74, s0, v34
	v_fma_f16 v34, v74, s12, v34
	;; [unrolled: 1-line block ×6, first 2 shown]
	v_add_f16_e32 v36, v31, v37
	v_add_f16_e32 v75, v33, v35
	v_fma_f16 v36, v36, -0.5, v66
	v_sub_f16_e32 v31, v33, v31
	v_sub_f16_e32 v33, v35, v37
	v_add_f16_e32 v31, v31, v33
	v_fma_f16 v33, v79, s12, v36
	v_fma_f16 v35, v79, s0, v36
	;; [unrolled: 1-line block ×6, first 2 shown]
	v_fma_f16 v67, v67, -0.5, v62
	v_pack_b32_f16 v33, v39, v33
	v_pack_b32_f16 v31, v34, v31
	v_fma_f16 v73, v72, s12, v67
	ds_write2_b32 v184, v33, v31 offset0:30 offset1:45
	v_fma_f16 v31, v72, s0, v67
	v_fma_f16 v73, v74, s6, v73
	v_fma_f16 v75, v75, -0.5, v66
	v_fma_f16 v31, v74, s7, v31
	v_sub_f16_e32 v36, v25, v28
	v_sub_f16_e32 v37, v32, v29
	v_fma_f16 v73, v38, s1, v73
	v_fma_f16 v31, v38, s1, v31
	;; [unrolled: 1-line block ×3, first 2 shown]
	v_lshrrev_b32_e32 v34, 16, v63
	v_add_f16_e32 v36, v36, v37
	v_sub_f16_e32 v37, v22, v24
	v_sub_f16_e32 v38, v30, v26
	v_fma_f16 v33, v79, s6, v33
	v_add_f16_e32 v35, v63, v25
	v_add_f16_e32 v37, v37, v38
	;; [unrolled: 1-line block ×3, first 2 shown]
	v_fma_f16 v78, v77, s0, v75
	v_fma_f16 v33, v60, s1, v33
	v_add_f16_e32 v35, v35, v28
	v_add_f16_e32 v38, v38, v24
	v_fma_f16 v78, v79, s7, v78
	v_pack_b32_f16 v31, v31, v33
	v_add_f16_e32 v33, v25, v32
	v_add_f16_e32 v35, v35, v29
	;; [unrolled: 1-line block ×3, first 2 shown]
	v_fma_f16 v78, v60, s1, v78
	ds_write_b32 v184, v31 offset:240
	v_add_f16_e32 v31, v28, v29
	v_fma_f16 v33, v33, -0.5, v63
	v_add_f16_e32 v35, v35, v32
	v_add_f16_e32 v38, v38, v30
	v_sub_f16_e32 v60, v24, v26
	v_sub_f16_e32 v62, v25, v32
	;; [unrolled: 1-line block ×5, first 2 shown]
	v_pack_b32_f16 v35, v35, v38
	v_sub_f16_e32 v38, v22, v30
	v_add_f16_e32 v25, v25, v28
	v_fma_f16 v28, v60, s0, v33
	v_fma_f16 v29, v60, s12, v33
	;; [unrolled: 1-line block ×4, first 2 shown]
	v_pack_b32_f16 v73, v73, v78
	v_fma_f16 v28, v25, s1, v28
	v_fma_f16 v25, v25, s1, v29
	v_add_f16_e32 v29, v22, v30
	ds_write2_b32 v184, v61, v73 offset1:15
	v_add_f16_e32 v61, v24, v26
	v_fma_f16 v29, v29, -0.5, v34
	v_sub_f16_e32 v22, v24, v22
	v_sub_f16_e32 v24, v26, v30
	v_add_f16_e32 v22, v22, v24
	v_fma_f16 v24, v66, s12, v29
	v_fma_f16 v26, v66, s0, v29
	;; [unrolled: 1-line block ×6, first 2 shown]
	v_fma_f16 v31, v31, -0.5, v63
	v_fma_f16 v61, v61, -0.5, v34
	v_pack_b32_f16 v24, v28, v24
	v_pack_b32_f16 v22, v25, v22
	ds_write2_b32 v186, v24, v22 offset0:30 offset1:45
	v_fma_f16 v22, v38, s0, v31
	v_fma_f16 v24, v62, s12, v61
	;; [unrolled: 1-line block ×6, first 2 shown]
	v_pack_b32_f16 v22, v22, v24
	ds_write_b32 v186, v22 offset:240
	v_sub_f16_e32 v22, v18, v20
	v_sub_f16_e32 v24, v27, v23
	v_add_f16_e32 v22, v22, v24
	v_sub_f16_e32 v24, v16, v17
	v_sub_f16_e32 v25, v21, v19
	v_lshrrev_b32_e32 v26, 16, v64
	v_fma_f16 v39, v38, s12, v31
	v_fma_f16 v63, v62, s0, v61
	v_add_f16_e32 v24, v24, v25
	v_add_f16_e32 v25, v64, v18
	v_add_f16_e32 v28, v26, v16
	v_fma_f16 v39, v60, s6, v39
	v_fma_f16 v63, v66, s7, v63
	v_add_f16_e32 v25, v25, v20
	v_add_f16_e32 v28, v28, v17
	v_fma_f16 v39, v36, s1, v39
	v_fma_f16 v63, v37, s1, v63
	v_add_f16_e32 v25, v25, v23
	v_add_f16_e32 v28, v28, v19
	v_pack_b32_f16 v39, v39, v63
	v_add_f16_e32 v25, v25, v27
	v_add_f16_e32 v28, v28, v21
	ds_write2_b32 v186, v35, v39 offset1:15
	v_pack_b32_f16 v25, v25, v28
	v_add_f16_e32 v28, v20, v23
	v_sub_f16_e32 v33, v18, v27
	v_sub_f16_e32 v35, v20, v23
	;; [unrolled: 1-line block ×3, first 2 shown]
	v_add_f16_e32 v18, v18, v27
	v_sub_f16_e32 v31, v17, v19
	v_sub_f16_e32 v23, v23, v27
	v_fma_f16 v18, v18, -0.5, v64
	v_sub_f16_e32 v29, v16, v21
	v_add_f16_e32 v20, v20, v23
	v_fma_f16 v23, v31, s0, v18
	v_fma_f16 v18, v31, s12, v18
	;; [unrolled: 1-line block ×6, first 2 shown]
	v_add_f16_e32 v20, v16, v21
	v_add_f16_e32 v32, v17, v19
	v_fma_f16 v20, v20, -0.5, v26
	v_sub_f16_e32 v16, v17, v16
	v_sub_f16_e32 v17, v19, v21
	v_add_f16_e32 v16, v16, v17
	v_fma_f16 v17, v35, s12, v20
	v_fma_f16 v19, v35, s0, v20
	;; [unrolled: 1-line block ×6, first 2 shown]
	v_fma_f16 v28, v28, -0.5, v64
	v_pack_b32_f16 v17, v23, v17
	v_pack_b32_f16 v16, v18, v16
	v_fma_f16 v30, v29, s12, v28
	ds_write2_b32 v190, v17, v16 offset0:30 offset1:45
	v_fma_f16 v16, v29, s0, v28
	v_fma_f16 v30, v31, s6, v30
	v_fma_f16 v32, v32, -0.5, v26
	v_fma_f16 v16, v31, s7, v16
	v_sub_f16_e32 v20, v4, v5
	v_sub_f16_e32 v21, v7, v6
	v_fma_f16 v30, v22, s1, v30
	v_fma_f16 v16, v22, s1, v16
	v_fma_f16 v17, v33, s12, v32
	v_lshrrev_b32_e32 v18, 16, v65
	v_add_f16_e32 v20, v20, v21
	v_sub_f16_e32 v21, v0, v1
	v_sub_f16_e32 v22, v3, v2
	v_fma_f16 v34, v33, s0, v32
	v_fma_f16 v17, v35, s6, v17
	v_add_f16_e32 v19, v65, v4
	v_add_f16_e32 v21, v21, v22
	;; [unrolled: 1-line block ×3, first 2 shown]
	v_fma_f16 v34, v35, s7, v34
	v_fma_f16 v17, v24, s1, v17
	v_add_f16_e32 v19, v19, v5
	v_add_f16_e32 v22, v22, v1
	v_fma_f16 v34, v24, s1, v34
	v_pack_b32_f16 v16, v16, v17
	v_add_f16_e32 v17, v4, v7
	v_add_f16_e32 v19, v19, v6
	;; [unrolled: 1-line block ×3, first 2 shown]
	v_pack_b32_f16 v30, v30, v34
	ds_write_b32 v190, v16 offset:240
	v_add_f16_e32 v16, v5, v6
	v_fma_f16 v17, v17, -0.5, v65
	v_add_f16_e32 v19, v19, v7
	v_add_f16_e32 v22, v22, v3
	v_sub_f16_e32 v24, v1, v2
	v_sub_f16_e32 v26, v4, v7
	v_sub_f16_e32 v28, v5, v6
	v_sub_f16_e32 v4, v5, v4
	v_sub_f16_e32 v5, v6, v7
	v_add_f16_e32 v7, v0, v3
	ds_write2_b32 v190, v25, v30 offset1:15
	v_pack_b32_f16 v19, v19, v22
	v_sub_f16_e32 v22, v0, v3
	v_add_f16_e32 v25, v1, v2
	v_add_f16_e32 v4, v4, v5
	v_fma_f16 v5, v24, s0, v17
	v_fma_f16 v6, v24, s12, v17
	v_fma_f16 v7, v7, -0.5, v18
	v_sub_f16_e32 v0, v1, v0
	v_sub_f16_e32 v1, v2, v3
	v_fma_f16 v16, v16, -0.5, v65
	v_fma_f16 v25, v25, -0.5, v18
	v_fma_f16 v5, v22, s6, v5
	v_fma_f16 v6, v22, s7, v6
	v_add_f16_e32 v0, v0, v1
	v_fma_f16 v1, v28, s12, v7
	v_fma_f16 v2, v28, s0, v7
	;; [unrolled: 1-line block ×20, first 2 shown]
	v_pack_b32_f16 v1, v5, v1
	v_pack_b32_f16 v0, v4, v0
	;; [unrolled: 1-line block ×3, first 2 shown]
	ds_write2_b32 v191, v1, v0 offset0:30 offset1:45
	v_pack_b32_f16 v0, v16, v6
	ds_write2_b32 v191, v19, v23 offset1:15
	ds_write_b32 v191, v0 offset:240
	s_waitcnt lgkmcnt(0)
	s_barrier
	ds_read2_b32 v[0:1], v138 offset0:122 offset1:247
	ds_read2_b32 v[2:3], v119 offset0:110 offset1:235
	;; [unrolled: 1-line block ×5, first 2 shown]
	s_waitcnt lgkmcnt(4)
	v_lshrrev_b32_e32 v4, 16, v1
	v_mul_f16_sdwa v5, v44, v4 dst_sel:DWORD dst_unused:UNUSED_PAD src0_sel:WORD_1 src1_sel:DWORD
	v_fma_f16 v33, v44, v1, v5
	v_mul_f16_sdwa v1, v44, v1 dst_sel:DWORD dst_unused:UNUSED_PAD src0_sel:WORD_1 src1_sel:DWORD
	s_waitcnt lgkmcnt(3)
	v_lshrrev_b32_e32 v6, 16, v2
	v_fma_f16 v38, v44, v4, -v1
	ds_read2_b32 v[4:5], v110 offset0:104 offset1:229
	v_mul_f16_sdwa v1, v45, v2 dst_sel:DWORD dst_unused:UNUSED_PAD src0_sel:WORD_1 src1_sel:DWORD
	v_fma_f16 v44, v45, v6, -v1
	v_mul_f16_sdwa v1, v45, v6 dst_sel:DWORD dst_unused:UNUSED_PAD src0_sel:WORD_1 src1_sel:DWORD
	v_fma_f16 v60, v45, v2, v1
	ds_read2_b32 v[1:2], v141 offset0:92 offset1:217
	s_waitcnt lgkmcnt(1)
	v_lshrrev_b32_e32 v6, 16, v5
	v_mul_f16_sdwa v7, v46, v5 dst_sel:DWORD dst_unused:UNUSED_PAD src0_sel:WORD_1 src1_sel:DWORD
	v_fma_f16 v39, v46, v6, -v7
	v_mul_f16_sdwa v6, v46, v6 dst_sel:DWORD dst_unused:UNUSED_PAD src0_sel:WORD_1 src1_sel:DWORD
	v_fma_f16 v45, v46, v5, v6
	s_waitcnt lgkmcnt(0)
	v_lshrrev_b32_e32 v5, 16, v1
	v_mul_f16_sdwa v6, v47, v1 dst_sel:DWORD dst_unused:UNUSED_PAD src0_sel:WORD_1 src1_sel:DWORD
	v_fma_f16 v46, v47, v5, -v6
	v_mul_f16_sdwa v5, v47, v5 dst_sel:DWORD dst_unused:UNUSED_PAD src0_sel:WORD_1 src1_sel:DWORD
	v_fma_f16 v47, v47, v1, v5
	v_lshrrev_b32_e32 v1, 16, v3
	v_mul_f16_sdwa v5, v57, v1 dst_sel:DWORD dst_unused:UNUSED_PAD src0_sel:WORD_1 src1_sel:DWORD
	v_fma_f16 v34, v57, v3, v5
	v_mul_f16_sdwa v3, v57, v3 dst_sel:DWORD dst_unused:UNUSED_PAD src0_sel:WORD_1 src1_sel:DWORD
	v_fma_f16 v29, v57, v1, -v3
	v_lshrrev_b32_e32 v1, 16, v2
	ds_read2_b32 v[5:6], v127 offset0:116 offset1:241
	v_mul_f16_sdwa v3, v59, v1 dst_sel:DWORD dst_unused:UNUSED_PAD src0_sel:WORD_1 src1_sel:DWORD
	v_fma_f16 v35, v59, v2, v3
	v_mul_f16_sdwa v2, v59, v2 dst_sel:DWORD dst_unused:UNUSED_PAD src0_sel:WORD_1 src1_sel:DWORD
	v_fma_f16 v30, v59, v1, -v2
	ds_read2_b32 v[1:2], v145 offset0:98 offset1:223
	s_waitcnt lgkmcnt(1)
	v_lshrrev_b32_e32 v3, 16, v5
	v_mul_f16_sdwa v7, v56, v5 dst_sel:DWORD dst_unused:UNUSED_PAD src0_sel:WORD_1 src1_sel:DWORD
	v_fma_f16 v24, v56, v3, -v7
	v_mul_f16_sdwa v3, v56, v3 dst_sel:DWORD dst_unused:UNUSED_PAD src0_sel:WORD_1 src1_sel:DWORD
	v_fma_f16 v27, v56, v5, v3
	s_waitcnt lgkmcnt(0)
	v_lshrrev_b32_e32 v3, 16, v1
	v_mul_f16_sdwa v5, v58, v1 dst_sel:DWORD dst_unused:UNUSED_PAD src0_sel:WORD_1 src1_sel:DWORD
	v_fma_f16 v25, v58, v3, -v5
	v_mul_f16_sdwa v3, v58, v3 dst_sel:DWORD dst_unused:UNUSED_PAD src0_sel:WORD_1 src1_sel:DWORD
	v_fma_f16 v28, v58, v1, v3
	v_lshrrev_b32_e32 v1, 16, v6
	v_mul_f16_sdwa v5, v92, v6 dst_sel:DWORD dst_unused:UNUSED_PAD src0_sel:WORD_1 src1_sel:DWORD
	v_mul_f16_sdwa v3, v92, v1 dst_sel:DWORD dst_unused:UNUSED_PAD src0_sel:WORD_1 src1_sel:DWORD
	v_fma_f16 v1, v92, v1, -v5
	v_lshrrev_b32_e32 v5, 16, v4
	v_fma_f16 v3, v92, v6, v3
	v_mul_f16_sdwa v6, v93, v5 dst_sel:DWORD dst_unused:UNUSED_PAD src0_sel:WORD_1 src1_sel:DWORD
	v_fma_f16 v6, v93, v4, v6
	v_mul_f16_sdwa v4, v93, v4 dst_sel:DWORD dst_unused:UNUSED_PAD src0_sel:WORD_1 src1_sel:DWORD
	v_lshrrev_b32_e32 v7, 16, v2
	v_fma_f16 v5, v93, v5, -v4
	v_mul_f16_sdwa v4, v94, v7 dst_sel:DWORD dst_unused:UNUSED_PAD src0_sel:WORD_1 src1_sel:DWORD
	v_fma_f16 v4, v94, v2, v4
	v_mul_f16_sdwa v2, v94, v2 dst_sel:DWORD dst_unused:UNUSED_PAD src0_sel:WORD_1 src1_sel:DWORD
	v_fma_f16 v2, v94, v7, -v2
	v_lshrrev_b32_e32 v16, 16, v17
	v_mul_f16_sdwa v7, v95, v17 dst_sel:DWORD dst_unused:UNUSED_PAD src0_sel:WORD_1 src1_sel:DWORD
	v_fma_f16 v7, v95, v16, -v7
	v_mul_f16_sdwa v16, v95, v16 dst_sel:DWORD dst_unused:UNUSED_PAD src0_sel:WORD_1 src1_sel:DWORD
	v_fma_f16 v17, v95, v17, v16
	v_lshrrev_b32_e32 v16, 16, v18
	v_mul_f16_sdwa v21, v40, v16 dst_sel:DWORD dst_unused:UNUSED_PAD src0_sel:WORD_1 src1_sel:DWORD
	v_fma_f16 v57, v40, v18, v21
	v_mul_f16_sdwa v18, v40, v18 dst_sel:DWORD dst_unused:UNUSED_PAD src0_sel:WORD_1 src1_sel:DWORD
	v_fma_f16 v56, v40, v16, -v18
	v_lshrrev_b32_e32 v16, 16, v19
	ds_read2_b32 v[21:22], v143 offset0:68 offset1:193
	v_mul_f16_sdwa v18, v41, v19 dst_sel:DWORD dst_unused:UNUSED_PAD src0_sel:WORD_1 src1_sel:DWORD
	v_fma_f16 v59, v41, v16, -v18
	v_mul_f16_sdwa v16, v41, v16 dst_sel:DWORD dst_unused:UNUSED_PAD src0_sel:WORD_1 src1_sel:DWORD
	v_fma_f16 v62, v41, v19, v16
	ds_read2_b32 v[18:19], v126 offset0:56 offset1:181
	s_waitcnt lgkmcnt(1)
	v_lshrrev_b32_e32 v16, 16, v22
	v_mul_f16_sdwa v23, v42, v22 dst_sel:DWORD dst_unused:UNUSED_PAD src0_sel:WORD_1 src1_sel:DWORD
	v_fma_f16 v58, v42, v16, -v23
	v_mul_f16_sdwa v16, v42, v16 dst_sel:DWORD dst_unused:UNUSED_PAD src0_sel:WORD_1 src1_sel:DWORD
	v_fma_f16 v61, v42, v22, v16
	s_waitcnt lgkmcnt(0)
	v_lshrrev_b32_e32 v16, 16, v18
	v_mul_f16_sdwa v22, v43, v18 dst_sel:DWORD dst_unused:UNUSED_PAD src0_sel:WORD_1 src1_sel:DWORD
	v_fma_f16 v63, v43, v16, -v22
	v_mul_f16_sdwa v16, v43, v16 dst_sel:DWORD dst_unused:UNUSED_PAD src0_sel:WORD_1 src1_sel:DWORD
	v_fma_f16 v64, v43, v18, v16
	v_lshrrev_b32_e32 v16, 16, v20
	v_mul_f16_sdwa v18, v89, v16 dst_sel:DWORD dst_unused:UNUSED_PAD src0_sel:WORD_1 src1_sel:DWORD
	ds_read2_b32 v[22:23], v118 offset0:80 offset1:205
	v_fma_f16 v42, v89, v20, v18
	v_mul_f16_sdwa v18, v89, v20 dst_sel:DWORD dst_unused:UNUSED_PAD src0_sel:WORD_1 src1_sel:DWORD
	v_fma_f16 v40, v89, v16, -v18
	v_lshrrev_b32_e32 v16, 16, v19
	v_mul_f16_sdwa v18, v91, v16 dst_sel:DWORD dst_unused:UNUSED_PAD src0_sel:WORD_1 src1_sel:DWORD
	v_fma_f16 v43, v91, v19, v18
	v_mul_f16_sdwa v18, v91, v19 dst_sel:DWORD dst_unused:UNUSED_PAD src0_sel:WORD_1 src1_sel:DWORD
	v_fma_f16 v41, v91, v16, -v18
	s_waitcnt lgkmcnt(0)
	v_lshrrev_b32_e32 v16, 16, v22
	v_mul_f16_sdwa v18, v88, v22 dst_sel:DWORD dst_unused:UNUSED_PAD src0_sel:WORD_1 src1_sel:DWORD
	v_fma_f16 v31, v88, v16, -v18
	v_mul_f16_sdwa v16, v88, v16 dst_sel:DWORD dst_unused:UNUSED_PAD src0_sel:WORD_1 src1_sel:DWORD
	v_fma_f16 v36, v88, v22, v16
	v_lshrrev_b32_e32 v16, 16, v65
	v_mul_f16_sdwa v18, v90, v65 dst_sel:DWORD dst_unused:UNUSED_PAD src0_sel:WORD_1 src1_sel:DWORD
	v_fma_f16 v32, v90, v16, -v18
	v_mul_f16_sdwa v16, v90, v16 dst_sel:DWORD dst_unused:UNUSED_PAD src0_sel:WORD_1 src1_sel:DWORD
	v_fma_f16 v37, v90, v65, v16
	v_lshrrev_b32_e32 v16, 16, v23
	v_mul_f16_sdwa v18, v84, v16 dst_sel:DWORD dst_unused:UNUSED_PAD src0_sel:WORD_1 src1_sel:DWORD
	v_fma_f16 v19, v84, v23, v18
	v_mul_f16_sdwa v18, v84, v23 dst_sel:DWORD dst_unused:UNUSED_PAD src0_sel:WORD_1 src1_sel:DWORD
	ds_read2_b32 v[72:73], v116 offset0:50 offset1:175
	v_fma_f16 v16, v84, v16, -v18
	v_lshrrev_b32_e32 v18, 16, v21
	v_mul_f16_sdwa v20, v85, v18 dst_sel:DWORD dst_unused:UNUSED_PAD src0_sel:WORD_1 src1_sel:DWORD
	v_fma_f16 v23, v85, v21, v20
	v_mul_f16_sdwa v20, v85, v21 dst_sel:DWORD dst_unused:UNUSED_PAD src0_sel:WORD_1 src1_sel:DWORD
	v_fma_f16 v21, v85, v18, -v20
	v_lshrrev_b32_e32 v18, 16, v66
	v_mul_f16_sdwa v20, v86, v18 dst_sel:DWORD dst_unused:UNUSED_PAD src0_sel:WORD_1 src1_sel:DWORD
	v_mul_f16_sdwa v22, v86, v66 dst_sel:DWORD dst_unused:UNUSED_PAD src0_sel:WORD_1 src1_sel:DWORD
	s_waitcnt lgkmcnt(0)
	v_lshrrev_b32_e32 v65, 16, v73
	v_fma_f16 v20, v86, v66, v20
	v_fma_f16 v18, v86, v18, -v22
	v_lshrrev_b32_e32 v26, 16, v72
	v_mul_f16_sdwa v22, v87, v72 dst_sel:DWORD dst_unused:UNUSED_PAD src0_sel:WORD_1 src1_sel:DWORD
	v_mul_f16_sdwa v66, v183, v65 dst_sel:DWORD dst_unused:UNUSED_PAD src0_sel:WORD_1 src1_sel:DWORD
	v_fma_f16 v22, v87, v26, -v22
	v_mul_f16_sdwa v26, v87, v26 dst_sel:DWORD dst_unused:UNUSED_PAD src0_sel:WORD_1 src1_sel:DWORD
	v_fma_f16 v67, v183, v73, v66
	v_mul_f16_sdwa v66, v183, v73 dst_sel:DWORD dst_unused:UNUSED_PAD src0_sel:WORD_1 src1_sel:DWORD
	v_fma_f16 v26, v87, v72, v26
	v_fma_f16 v66, v183, v65, -v66
	v_sub_f16_e32 v65, v60, v47
	v_sub_f16_e32 v72, v64, v62
	v_add_f16_e32 v65, v65, v72
	v_sub_f16_e32 v72, v44, v46
	v_sub_f16_e32 v73, v63, v59
	v_add_f16_e32 v72, v72, v73
	;; [unrolled: 3-line block ×4, first 2 shown]
	v_add_f16_e32 v73, v57, v61
	v_fma_f16 v79, v73, -0.5, v33
	v_sub_f16_e32 v84, v39, v66
	v_fma_f16 v73, v84, s12, v79
	v_sub_f16_e32 v85, v56, v58
	v_fma_f16 v73, v85, s6, v73
	v_fma_f16 v75, v77, s1, v73
	v_add_f16_e32 v73, v56, v58
	v_fma_f16 v86, v73, -0.5, v38
	v_sub_f16_e32 v87, v45, v67
	v_fma_f16 v73, v87, s0, v86
	v_sub_f16_e32 v88, v57, v61
	v_fma_f16 v73, v88, s7, v73
	v_fma_f16 v76, v78, s1, v73
	ds_read2_b32 v[73:74], v142 offset1:125
	v_mul_f16_e32 v89, 0xb8b4, v76
	v_mul_f16_e32 v76, 0x3a79, v76
	v_fma_f16 v89, v75, s13, v89
	v_fma_f16 v90, v75, s7, v76
	s_waitcnt lgkmcnt(0)
	v_add_f16_e32 v75, v73, v60
	v_add_f16_e32 v75, v75, v47
	;; [unrolled: 1-line block ×3, first 2 shown]
	v_lshrrev_b32_e32 v92, 16, v73
	v_add_f16_e32 v91, v75, v64
	v_add_f16_e32 v75, v92, v44
	;; [unrolled: 1-line block ×15, first 2 shown]
	v_pack_b32_f16 v97, v75, v76
	v_add_f16_e32 v75, v47, v62
	v_sub_f16_e32 v151, v60, v64
	v_sub_f16_e32 v152, v47, v62
	;; [unrolled: 1-line block ×3, first 2 shown]
	v_add_f16_e32 v60, v60, v64
	v_sub_f16_e32 v148, v46, v59
	v_sub_f16_e32 v62, v62, v64
	v_fma_f16 v60, v60, -0.5, v73
	v_fma_f16 v98, v75, -0.5, v73
	v_sub_f16_e32 v147, v44, v63
	v_add_f16_e32 v47, v47, v62
	v_fma_f16 v62, v148, s0, v60
	v_fma_f16 v60, v148, s12, v60
	v_fma_f16 v75, v147, s12, v98
	v_fma_f16 v62, v147, s6, v62
	v_fma_f16 v60, v147, s7, v60
	v_fma_f16 v75, v148, s6, v75
	v_fma_f16 v62, v47, s1, v62
	v_fma_f16 v47, v47, s1, v60
	v_add_f16_e32 v60, v44, v63
	v_fma_f16 v149, v65, s1, v75
	v_add_f16_e32 v75, v46, v59
	v_fma_f16 v60, v60, -0.5, v92
	v_sub_f16_e32 v44, v46, v44
	v_sub_f16_e32 v46, v59, v63
	v_add_f16_e32 v44, v44, v46
	v_fma_f16 v46, v152, s12, v60
	v_fma_f16 v59, v152, s0, v60
	v_fma_f16 v46, v151, s7, v46
	v_fma_f16 v59, v151, s6, v59
	v_fma_f16 v46, v44, s1, v46
	v_fma_f16 v44, v44, s1, v59
	v_add_f16_e32 v59, v45, v67
	v_fma_f16 v33, v59, -0.5, v33
	v_sub_f16_e32 v45, v57, v45
	v_sub_f16_e32 v57, v61, v67
	v_add_f16_e32 v45, v45, v57
	v_fma_f16 v57, v85, s0, v33
	v_fma_f16 v33, v85, s12, v33
	v_fma_f16 v57, v84, s6, v57
	v_fma_f16 v33, v84, s7, v33
	v_fma_f16 v57, v45, s1, v57
	;; [unrolled: 11-line block ×3, first 2 shown]
	v_fma_f16 v150, v75, -0.5, v92
	v_fma_f16 v38, v39, s1, v38
	v_mul_f16_e32 v39, 0xbb9c, v45
	v_mul_f16_e32 v45, 0x34f2, v45
	v_fma_f16 v75, v151, s0, v150
	v_fma_f16 v39, v57, s1, v39
	;; [unrolled: 1-line block ×3, first 2 shown]
	v_mul_f16_e32 v56, 0xbb9c, v38
	v_mul_f16_e32 v38, 0xb4f2, v38
	v_fma_f16 v75, v152, s7, v75
	v_fma_f16 v56, v33, s2, v56
	;; [unrolled: 1-line block ×3, first 2 shown]
	v_add_f16_e32 v38, v62, v39
	v_add_f16_e32 v57, v46, v45
	v_fma_f16 v153, v72, s1, v75
	v_pack_b32_f16 v38, v38, v57
	v_add_f16_e32 v57, v47, v56
	v_add_f16_e32 v58, v44, v33
	v_fma_f16 v59, v87, s12, v86
	v_add_f16_e32 v75, v149, v89
	v_add_f16_e32 v76, v153, v90
	v_pack_b32_f16 v57, v57, v58
	v_fma_f16 v58, v84, s0, v79
	v_fma_f16 v59, v88, s6, v59
	v_pack_b32_f16 v154, v75, v76
	ds_read2_b32 v[75:76], v106 offset0:44 offset1:169
	s_waitcnt lgkmcnt(0)
	s_barrier
	ds_write2_b32 v187, v38, v57 offset0:150 offset1:225
	v_fma_f16 v38, v147, s0, v98
	v_fma_f16 v57, v151, s12, v150
	;; [unrolled: 1-line block ×7, first 2 shown]
	v_mul_f16_e32 v60, 0xb8b4, v59
	v_mul_f16_e32 v59, 0xba79, v59
	v_fma_f16 v38, v65, s1, v38
	v_fma_f16 v57, v72, s1, v57
	;; [unrolled: 1-line block ×4, first 2 shown]
	v_sub_f16_e32 v59, v91, v94
	v_sub_f16_e32 v61, v93, v95
	v_add_f16_e32 v63, v38, v60
	v_add_f16_e32 v64, v57, v58
	v_pack_b32_f16 v63, v63, v64
	v_pack_b32_f16 v59, v59, v61
	ds_write2_b32 v192, v63, v59 offset0:44 offset1:119
	v_sub_f16_e32 v59, v149, v89
	v_sub_f16_e32 v39, v62, v39
	;; [unrolled: 1-line block ×4, first 2 shown]
	v_pack_b32_f16 v46, v59, v61
	v_pack_b32_f16 v39, v39, v45
	ds_write2_b32 v193, v46, v39 offset0:66 offset1:141
	v_sub_f16_e32 v39, v47, v56
	v_sub_f16_e32 v33, v44, v33
	;; [unrolled: 1-line block ×4, first 2 shown]
	v_pack_b32_f16 v33, v39, v33
	v_lshrrev_b32_e32 v39, 16, v76
	v_mul_f16_sdwa v45, v185, v76 dst_sel:DWORD dst_unused:UNUSED_PAD src0_sel:WORD_1 src1_sel:DWORD
	v_pack_b32_f16 v38, v38, v44
	v_mul_f16_sdwa v44, v185, v39 dst_sel:DWORD dst_unused:UNUSED_PAD src0_sel:WORD_1 src1_sel:DWORD
	v_fma_f16 v39, v185, v39, -v45
	v_add_f16_e32 v45, v35, v42
	v_sub_f16_e32 v57, v34, v35
	v_sub_f16_e32 v58, v43, v42
	v_fma_f16 v45, v45, -0.5, v74
	v_add_f16_e32 v56, v74, v34
	v_add_f16_e32 v57, v57, v58
	v_sub_f16_e32 v58, v29, v41
	v_fma_f16 v59, v58, s12, v45
	v_sub_f16_e32 v60, v30, v40
	v_fma_f16 v45, v58, s0, v45
	v_add_f16_e32 v56, v56, v35
	v_add_f16_e32 v46, v34, v43
	v_fma_f16 v59, v60, s6, v59
	v_fma_f16 v45, v60, s7, v45
	v_add_f16_e32 v56, v56, v42
	v_fma_f16 v46, v46, -0.5, v74
	v_fma_f16 v59, v57, s1, v59
	v_fma_f16 v45, v57, s1, v45
	v_sub_f16_e32 v57, v35, v34
	v_sub_f16_e32 v61, v42, v43
	v_add_f16_e32 v56, v56, v43
	v_sub_f16_e32 v34, v34, v43
	v_sub_f16_e32 v35, v35, v42
	;; [unrolled: 1-line block ×4, first 2 shown]
	v_lshrrev_b32_e32 v47, 16, v74
	v_add_f16_e32 v57, v57, v61
	v_fma_f16 v61, v60, s0, v46
	v_fma_f16 v46, v60, s12, v46
	v_add_f16_e32 v42, v42, v43
	v_add_f16_e32 v43, v30, v40
	v_fma_f16 v60, v58, s6, v61
	v_fma_f16 v46, v58, s7, v46
	v_fma_f16 v43, v43, -0.5, v47
	v_fma_f16 v58, v57, s1, v60
	v_fma_f16 v46, v57, s1, v46
	;; [unrolled: 1-line block ×8, first 2 shown]
	v_add_f16_e32 v43, v29, v41
	v_fma_f16 v43, v43, -0.5, v47
	v_add_f16_e32 v47, v47, v29
	v_add_f16_e32 v47, v47, v30
	v_sub_f16_e32 v29, v30, v29
	v_add_f16_e32 v30, v47, v40
	ds_write2_b32 v194, v33, v38 offset0:88 offset1:163
	v_lshrrev_b32_e32 v33, 16, v75
	v_mul_f16_sdwa v38, v188, v75 dst_sel:DWORD dst_unused:UNUSED_PAD src0_sel:WORD_1 src1_sel:DWORD
	v_add_f16_e32 v47, v30, v41
	v_sub_f16_e32 v30, v40, v41
	v_fma_f16 v38, v188, v33, -v38
	v_mul_f16_sdwa v33, v188, v33 dst_sel:DWORD dst_unused:UNUSED_PAD src0_sel:WORD_1 src1_sel:DWORD
	v_add_f16_e32 v29, v29, v30
	v_fma_f16 v30, v35, s12, v43
	v_fma_f16 v35, v35, s0, v43
	;; [unrolled: 1-line block ×7, first 2 shown]
	v_sub_f16_e32 v29, v28, v36
	v_sub_f16_e32 v30, v33, v37
	v_add_f16_e32 v29, v29, v30
	v_add_f16_e32 v30, v36, v37
	v_fma_f16 v30, v30, -0.5, v27
	v_sub_f16_e32 v40, v25, v38
	v_fma_f16 v41, v40, s12, v30
	v_sub_f16_e32 v43, v31, v32
	v_fma_f16 v30, v40, s0, v30
	v_fma_f16 v41, v43, s6, v41
	;; [unrolled: 1-line block ×5, first 2 shown]
	v_sub_f16_e32 v30, v36, v28
	v_sub_f16_e32 v60, v37, v33
	v_add_f16_e32 v30, v30, v60
	v_add_f16_e32 v60, v28, v33
	v_fma_f16 v60, v60, -0.5, v27
	v_add_f16_e32 v27, v27, v28
	v_add_f16_e32 v27, v27, v36
	;; [unrolled: 1-line block ×4, first 2 shown]
	v_sub_f16_e32 v28, v28, v33
	v_sub_f16_e32 v33, v36, v37
	;; [unrolled: 1-line block ×4, first 2 shown]
	v_fma_f16 v61, v43, s0, v60
	v_fma_f16 v43, v43, s12, v60
	v_add_f16_e32 v36, v36, v37
	v_add_f16_e32 v37, v31, v32
	v_fma_f16 v60, v40, s6, v61
	v_fma_f16 v40, v40, s7, v43
	v_fma_f16 v37, v37, -0.5, v24
	v_fma_f16 v43, v30, s1, v60
	v_fma_f16 v30, v30, s1, v40
	;; [unrolled: 1-line block ×8, first 2 shown]
	v_add_f16_e32 v37, v25, v38
	v_fma_f16 v37, v37, -0.5, v24
	v_add_f16_e32 v24, v24, v25
	v_add_f16_e32 v24, v24, v31
	;; [unrolled: 1-line block ×3, first 2 shown]
	v_sub_f16_e32 v25, v31, v25
	v_add_f16_e32 v31, v24, v38
	v_sub_f16_e32 v24, v32, v38
	v_add_f16_e32 v24, v25, v24
	v_fma_f16 v25, v33, s12, v37
	v_fma_f16 v32, v33, s0, v37
	;; [unrolled: 1-line block ×6, first 2 shown]
	v_mul_f16_e32 v33, 0xbb9c, v25
	v_mul_f16_e32 v25, 0x34f2, v25
	v_fma_f16 v37, v43, s0, v25
	v_mul_f16_e32 v25, 0xbb9c, v24
	v_mul_f16_e32 v24, 0xb4f2, v24
	;; [unrolled: 1-line block ×4, first 2 shown]
	v_fma_f16 v40, v30, s0, v24
	v_mul_f16_e32 v24, 0xb8b4, v36
	v_fma_f16 v28, v41, s13, v28
	v_fma_f16 v32, v41, s7, v32
	;; [unrolled: 1-line block ×3, first 2 shown]
	v_mul_f16_e32 v24, 0xba79, v36
	v_fma_f16 v33, v43, s1, v33
	v_fma_f16 v38, v30, s2, v25
	;; [unrolled: 1-line block ×3, first 2 shown]
	v_add_f16_e32 v60, v56, v27
	v_sub_f16_e32 v24, v56, v27
	v_add_f16_e32 v56, v59, v28
	v_sub_f16_e32 v25, v59, v28
	;; [unrolled: 2-line block ×9, first 2 shown]
	v_add_f16_e32 v40, v17, v23
	v_add_f16_e32 v42, v6, v26
	v_sub_f16_e32 v46, v6, v17
	v_sub_f16_e32 v47, v26, v23
	v_fma_f16 v40, v40, -0.5, v0
	v_fma_f16 v42, v42, -0.5, v0
	v_lshrrev_b32_e32 v43, 16, v0
	v_add_f16_e32 v0, v0, v6
	v_add_f16_e32 v46, v46, v47
	v_sub_f16_e32 v47, v5, v22
	v_add_f16_e32 v41, v57, v32
	v_sub_f16_e32 v32, v57, v32
	v_fma_f16 v57, v47, s12, v40
	v_sub_f16_e32 v61, v7, v21
	v_fma_f16 v40, v47, s0, v40
	v_add_f16_e32 v0, v0, v17
	v_fma_f16 v57, v61, s6, v57
	v_fma_f16 v40, v61, s7, v40
	v_add_f16_e32 v0, v0, v23
	v_fma_f16 v57, v46, s1, v57
	v_fma_f16 v40, v46, s1, v40
	v_sub_f16_e32 v46, v17, v6
	v_sub_f16_e32 v62, v23, v26
	v_add_f16_e32 v0, v0, v26
	v_sub_f16_e32 v6, v6, v26
	v_sub_f16_e32 v17, v17, v23
	;; [unrolled: 1-line block ×4, first 2 shown]
	v_add_f16_e32 v46, v46, v62
	v_fma_f16 v62, v61, s0, v42
	v_fma_f16 v42, v61, s12, v42
	v_add_f16_e32 v23, v23, v26
	v_add_f16_e32 v26, v7, v21
	v_fma_f16 v61, v47, s6, v62
	v_fma_f16 v42, v47, s7, v42
	v_fma_f16 v26, v26, -0.5, v43
	v_fma_f16 v47, v46, s1, v61
	v_fma_f16 v42, v46, s1, v42
	;; [unrolled: 1-line block ×8, first 2 shown]
	v_add_f16_e32 v26, v5, v22
	v_fma_f16 v26, v26, -0.5, v43
	v_add_f16_e32 v43, v43, v5
	v_add_f16_e32 v43, v43, v7
	v_sub_f16_e32 v5, v7, v5
	v_add_f16_e32 v7, v43, v21
	v_sub_f16_e32 v21, v21, v22
	v_add_f16_e32 v5, v5, v21
	v_fma_f16 v21, v17, s12, v26
	v_fma_f16 v17, v17, s0, v26
	;; [unrolled: 1-line block ×7, first 2 shown]
	v_sub_f16_e32 v6, v4, v19
	v_sub_f16_e32 v21, v44, v20
	v_add_f16_e32 v6, v6, v21
	v_add_f16_e32 v21, v19, v20
	;; [unrolled: 1-line block ×3, first 2 shown]
	v_fma_f16 v21, v21, -0.5, v3
	v_sub_f16_e32 v22, v2, v39
	v_fma_f16 v26, v22, s12, v21
	v_sub_f16_e32 v43, v16, v18
	v_fma_f16 v21, v22, s0, v21
	v_fma_f16 v26, v43, s6, v26
	;; [unrolled: 1-line block ×5, first 2 shown]
	v_sub_f16_e32 v21, v19, v4
	v_sub_f16_e32 v61, v20, v44
	v_add_f16_e32 v21, v21, v61
	v_add_f16_e32 v61, v4, v44
	v_fma_f16 v61, v61, -0.5, v3
	v_fma_f16 v62, v43, s0, v61
	v_fma_f16 v43, v43, s12, v61
	v_add_f16_e32 v3, v3, v4
	v_fma_f16 v61, v22, s6, v62
	v_fma_f16 v22, v22, s7, v43
	v_add_f16_e32 v3, v3, v19
	;; [unrolled: 3-line block ×3, first 2 shown]
	v_sub_f16_e32 v19, v19, v20
	v_sub_f16_e32 v20, v2, v16
	;; [unrolled: 1-line block ×3, first 2 shown]
	v_add_f16_e32 v20, v20, v22
	v_add_f16_e32 v22, v16, v18
	v_sub_f16_e32 v4, v4, v44
	v_fma_f16 v22, v22, -0.5, v1
	v_add_f16_e32 v3, v3, v44
	v_fma_f16 v44, v4, s0, v22
	v_fma_f16 v22, v4, s12, v22
	;; [unrolled: 1-line block ×6, first 2 shown]
	v_add_f16_e32 v22, v2, v39
	v_fma_f16 v22, v22, -0.5, v1
	v_add_f16_e32 v1, v1, v2
	v_add_f16_e32 v1, v1, v16
	v_sub_f16_e32 v2, v16, v2
	v_sub_f16_e32 v16, v18, v39
	v_add_f16_e32 v1, v1, v18
	v_add_f16_e32 v2, v2, v16
	v_fma_f16 v16, v19, s12, v22
	v_fma_f16 v18, v19, s0, v22
	;; [unrolled: 1-line block ×6, first 2 shown]
	v_mul_f16_e32 v22, 0xbb9c, v2
	v_mul_f16_e32 v2, 0xb4f2, v2
	;; [unrolled: 1-line block ×4, first 2 shown]
	v_fma_f16 v22, v21, s2, v22
	v_fma_f16 v2, v21, s0, v2
	v_mul_f16_e32 v21, 0xb8b4, v20
	v_mul_f16_e32 v20, 0xba79, v20
	v_fma_f16 v16, v43, s0, v16
	v_fma_f16 v21, v6, s3, v21
	;; [unrolled: 1-line block ×4, first 2 shown]
	v_add_f16_e32 v43, v17, v16
	v_sub_f16_e32 v16, v17, v16
	v_add_f16_e32 v17, v5, v2
	v_sub_f16_e32 v2, v5, v2
	;; [unrolled: 2-line block ×3, first 2 shown]
	v_pack_b32_f16 v23, v60, v38
	v_pack_b32_f16 v38, v56, v41
	ds_write2_b32 v187, v97, v154 offset1:75
	v_mul_f16_e32 v4, 0xb8b4, v44
	v_mul_f16_e32 v18, 0x3a79, v44
	ds_write2_b32 v171, v23, v38 offset1:75
	v_pack_b32_f16 v23, v59, v45
	v_pack_b32_f16 v37, v58, v37
	v_add_f16_e32 v1, v1, v39
	v_fma_f16 v4, v26, s13, v4
	v_fma_f16 v18, v26, s7, v18
	ds_write2_b32 v171, v23, v37 offset0:150 offset1:225
	v_pack_b32_f16 v23, v30, v36
	v_pack_b32_f16 v24, v24, v31
	v_add_f16_e32 v20, v0, v3
	v_sub_f16_e32 v0, v0, v3
	v_add_f16_e32 v3, v57, v4
	v_add_f16_e32 v39, v42, v22
	v_sub_f16_e32 v22, v42, v22
	v_add_f16_e32 v42, v40, v21
	v_sub_f16_e32 v21, v40, v21
	;; [unrolled: 2-line block ×3, first 2 shown]
	v_add_f16_e32 v7, v46, v18
	ds_write2_b32 v157, v23, v24 offset0:44 offset1:119
	v_pack_b32_f16 v23, v25, v32
	v_pack_b32_f16 v24, v27, v33
	v_add_f16_e32 v26, v47, v19
	ds_write2_b32 v158, v23, v24 offset0:66 offset1:141
	v_pack_b32_f16 v23, v28, v34
	v_pack_b32_f16 v24, v29, v35
	v_pack_b32_f16 v20, v20, v40
	v_pack_b32_f16 v3, v3, v7
	ds_write2_b32 v159, v23, v24 offset0:88 offset1:163
	ds_write2_b32 v173, v20, v3 offset1:75
	v_pack_b32_f16 v3, v26, v43
	v_pack_b32_f16 v7, v39, v17
	v_sub_f16_e32 v4, v57, v4
	v_sub_f16_e32 v19, v47, v19
	;; [unrolled: 1-line block ×3, first 2 shown]
	ds_write2_b32 v173, v3, v7 offset0:150 offset1:225
	v_pack_b32_f16 v3, v42, v5
	v_pack_b32_f16 v0, v0, v1
	ds_write2_b32 v174, v3, v0 offset0:44 offset1:119
	v_pack_b32_f16 v0, v4, v18
	v_pack_b32_f16 v1, v19, v16
	;; [unrolled: 3-line block ×3, first 2 shown]
	ds_write2_b32 v176, v0, v1 offset0:88 offset1:163
	s_waitcnt lgkmcnt(0)
	s_barrier
	ds_read2_b32 v[2:3], v142 offset1:125
	ds_read2_b32 v[4:5], v119 offset0:110 offset1:235
	ds_read2_b32 v[6:7], v141 offset0:92 offset1:217
	;; [unrolled: 1-line block ×9, first 2 shown]
	s_waitcnt lgkmcnt(8)
	v_lshrrev_b32_e32 v33, 16, v4
	v_mul_f16_sdwa v59, v12, v33 dst_sel:DWORD dst_unused:UNUSED_PAD src0_sel:WORD_1 src1_sel:DWORD
	s_waitcnt lgkmcnt(7)
	v_lshrrev_b32_e32 v34, 16, v6
	v_fma_f16 v59, v12, v4, v59
	v_mul_f16_sdwa v4, v12, v4 dst_sel:DWORD dst_unused:UNUSED_PAD src0_sel:WORD_1 src1_sel:DWORD
	v_fma_f16 v12, v12, v33, -v4
	v_mul_f16_sdwa v4, v13, v34 dst_sel:DWORD dst_unused:UNUSED_PAD src0_sel:WORD_1 src1_sel:DWORD
	s_waitcnt lgkmcnt(6)
	v_lshrrev_b32_e32 v35, 16, v16
	v_fma_f16 v33, v13, v6, v4
	v_mul_f16_sdwa v4, v13, v6 dst_sel:DWORD dst_unused:UNUSED_PAD src0_sel:WORD_1 src1_sel:DWORD
	v_fma_f16 v13, v13, v34, -v4
	v_mul_f16_sdwa v4, v14, v35 dst_sel:DWORD dst_unused:UNUSED_PAD src0_sel:WORD_1 src1_sel:DWORD
	v_fma_f16 v34, v14, v16, v4
	v_mul_f16_sdwa v4, v14, v16 dst_sel:DWORD dst_unused:UNUSED_PAD src0_sel:WORD_1 src1_sel:DWORD
	s_waitcnt lgkmcnt(5)
	v_lshrrev_b32_e32 v36, 16, v18
	v_fma_f16 v14, v14, v35, -v4
	v_mul_f16_sdwa v4, v15, v18 dst_sel:DWORD dst_unused:UNUSED_PAD src0_sel:WORD_1 src1_sel:DWORD
	v_lshrrev_b32_e32 v38, 16, v5
	v_fma_f16 v16, v15, v36, -v4
	v_mul_f16_sdwa v4, v15, v36 dst_sel:DWORD dst_unused:UNUSED_PAD src0_sel:WORD_1 src1_sel:DWORD
	v_fma_f16 v15, v15, v18, v4
	v_mul_f16_sdwa v4, v8, v38 dst_sel:DWORD dst_unused:UNUSED_PAD src0_sel:WORD_1 src1_sel:DWORD
	v_lshrrev_b32_e32 v39, 16, v7
	v_lshrrev_b32_e32 v40, 16, v17
	v_fma_f16 v60, v8, v5, v4
	v_mul_f16_sdwa v4, v8, v5 dst_sel:DWORD dst_unused:UNUSED_PAD src0_sel:WORD_1 src1_sel:DWORD
	v_mul_f16_sdwa v6, v9, v7 dst_sel:DWORD dst_unused:UNUSED_PAD src0_sel:WORD_1 src1_sel:DWORD
	v_fma_f16 v38, v8, v38, -v4
	v_mul_f16_sdwa v4, v9, v39 dst_sel:DWORD dst_unused:UNUSED_PAD src0_sel:WORD_1 src1_sel:DWORD
	v_fma_f16 v39, v9, v39, -v6
	v_mul_f16_sdwa v6, v10, v40 dst_sel:DWORD dst_unused:UNUSED_PAD src0_sel:WORD_1 src1_sel:DWORD
	v_lshrrev_b32_e32 v41, 16, v19
	s_waitcnt lgkmcnt(3)
	v_lshrrev_b32_e32 v43, 16, v22
	v_fma_f16 v62, v10, v17, v6
	v_mul_f16_sdwa v6, v10, v17 dst_sel:DWORD dst_unused:UNUSED_PAD src0_sel:WORD_1 src1_sel:DWORD
	v_fma_f16 v10, v10, v40, -v6
	v_mul_f16_sdwa v6, v11, v41 dst_sel:DWORD dst_unused:UNUSED_PAD src0_sel:WORD_1 src1_sel:DWORD
	v_mul_f16_sdwa v8, v48, v43 dst_sel:DWORD dst_unused:UNUSED_PAD src0_sel:WORD_1 src1_sel:DWORD
	s_waitcnt lgkmcnt(2)
	v_lshrrev_b32_e32 v44, 16, v24
	v_fma_f16 v40, v11, v19, v6
	v_mul_f16_sdwa v6, v11, v19 dst_sel:DWORD dst_unused:UNUSED_PAD src0_sel:WORD_1 src1_sel:DWORD
	v_fma_f16 v19, v48, v22, v8
	v_mul_f16_sdwa v8, v48, v22 dst_sel:DWORD dst_unused:UNUSED_PAD src0_sel:WORD_1 src1_sel:DWORD
	ds_read2_b32 v[0:1], v127 offset0:116 offset1:241
	ds_read2_b32 v[30:31], v145 offset0:98 offset1:223
	v_fma_f16 v22, v48, v43, -v8
	v_mul_f16_sdwa v8, v49, v44 dst_sel:DWORD dst_unused:UNUSED_PAD src0_sel:WORD_1 src1_sel:DWORD
	v_lshrrev_b32_e32 v57, 16, v25
	v_fma_f16 v11, v11, v41, -v6
	v_fma_f16 v41, v49, v24, v8
	v_mul_f16_sdwa v8, v49, v24 dst_sel:DWORD dst_unused:UNUSED_PAD src0_sel:WORD_1 src1_sel:DWORD
	s_waitcnt lgkmcnt(3)
	v_lshrrev_b32_e32 v45, 16, v26
	v_fma_f16 v61, v9, v7, v4
	ds_read2_b32 v[4:5], v118 offset0:80 offset1:205
	v_fma_f16 v24, v49, v44, -v8
	v_mul_f16_sdwa v49, v53, v57 dst_sel:DWORD dst_unused:UNUSED_PAD src0_sel:WORD_1 src1_sel:DWORD
	s_waitcnt lgkmcnt(3)
	v_lshrrev_b32_e32 v18, 16, v29
	v_mul_f16_sdwa v8, v50, v45 dst_sel:DWORD dst_unused:UNUSED_PAD src0_sel:WORD_1 src1_sel:DWORD
	v_fma_f16 v49, v53, v25, v49
	v_mul_f16_sdwa v25, v53, v25 dst_sel:DWORD dst_unused:UNUSED_PAD src0_sel:WORD_1 src1_sel:DWORD
	ds_read2_b32 v[6:7], v139 offset0:62 offset1:187
	v_fma_f16 v43, v50, v26, v8
	v_mul_f16_sdwa v8, v50, v26 dst_sel:DWORD dst_unused:UNUSED_PAD src0_sel:WORD_1 src1_sel:DWORD
	v_fma_f16 v25, v53, v57, -v25
	v_mul_f16_sdwa v53, v55, v18 dst_sel:DWORD dst_unused:UNUSED_PAD src0_sel:WORD_1 src1_sel:DWORD
	v_lshrrev_b32_e32 v46, 16, v28
	v_lshrrev_b32_e32 v56, 16, v23
	s_waitcnt lgkmcnt(2)
	v_lshrrev_b32_e32 v36, 16, v30
	v_fma_f16 v26, v50, v45, -v8
	v_mul_f16_sdwa v8, v51, v28 dst_sel:DWORD dst_unused:UNUSED_PAD src0_sel:WORD_1 src1_sel:DWORD
	v_fma_f16 v53, v55, v29, v53
	v_mul_f16_sdwa v29, v55, v29 dst_sel:DWORD dst_unused:UNUSED_PAD src0_sel:WORD_1 src1_sel:DWORD
	v_fma_f16 v44, v51, v46, -v8
	v_mul_f16_sdwa v8, v51, v46 dst_sel:DWORD dst_unused:UNUSED_PAD src0_sel:WORD_1 src1_sel:DWORD
	v_mul_f16_sdwa v46, v52, v56 dst_sel:DWORD dst_unused:UNUSED_PAD src0_sel:WORD_1 src1_sel:DWORD
	v_fma_f16 v18, v55, v18, -v29
	v_mul_f16_sdwa v55, v68, v36 dst_sel:DWORD dst_unused:UNUSED_PAD src0_sel:WORD_1 src1_sel:DWORD
	v_lshrrev_b32_e32 v58, 16, v27
	s_waitcnt lgkmcnt(1)
	v_lshrrev_b32_e32 v17, 16, v4
	v_fma_f16 v28, v51, v28, v8
	ds_read2_b32 v[8:9], v106 offset0:44 offset1:169
	v_fma_f16 v46, v52, v23, v46
	v_mul_f16_sdwa v23, v52, v23 dst_sel:DWORD dst_unused:UNUSED_PAD src0_sel:WORD_1 src1_sel:DWORD
	v_fma_f16 v55, v68, v30, v55
	v_mul_f16_sdwa v30, v68, v30 dst_sel:DWORD dst_unused:UNUSED_PAD src0_sel:WORD_1 src1_sel:DWORD
	v_fma_f16 v23, v52, v56, -v23
	v_mul_f16_sdwa v51, v54, v58 dst_sel:DWORD dst_unused:UNUSED_PAD src0_sel:WORD_1 src1_sel:DWORD
	v_lshrrev_b32_e32 v52, 16, v31
	v_fma_f16 v30, v68, v36, -v30
	v_mul_f16_sdwa v36, v69, v17 dst_sel:DWORD dst_unused:UNUSED_PAD src0_sel:WORD_1 src1_sel:DWORD
	s_waitcnt lgkmcnt(1)
	v_lshrrev_b32_e32 v45, 16, v6
	v_fma_f16 v51, v54, v27, v51
	v_mul_f16_sdwa v27, v54, v27 dst_sel:DWORD dst_unused:UNUSED_PAD src0_sel:WORD_1 src1_sel:DWORD
	v_fma_f16 v36, v69, v4, v36
	v_mul_f16_sdwa v4, v69, v4 dst_sel:DWORD dst_unused:UNUSED_PAD src0_sel:WORD_1 src1_sel:DWORD
	v_mul_f16_sdwa v56, v80, v52 dst_sel:DWORD dst_unused:UNUSED_PAD src0_sel:WORD_1 src1_sel:DWORD
	v_fma_f16 v27, v54, v58, -v27
	v_lshrrev_b32_e32 v54, 16, v5
	v_fma_f16 v4, v69, v17, -v4
	v_mul_f16_sdwa v17, v70, v45 dst_sel:DWORD dst_unused:UNUSED_PAD src0_sel:WORD_1 src1_sel:DWORD
	v_fma_f16 v56, v80, v31, v56
	v_mul_f16_sdwa v31, v80, v31 dst_sel:DWORD dst_unused:UNUSED_PAD src0_sel:WORD_1 src1_sel:DWORD
	v_fma_f16 v17, v70, v6, v17
	v_mul_f16_sdwa v6, v70, v6 dst_sel:DWORD dst_unused:UNUSED_PAD src0_sel:WORD_1 src1_sel:DWORD
	v_fma_f16 v31, v80, v52, -v31
	v_mul_f16_sdwa v52, v81, v54 dst_sel:DWORD dst_unused:UNUSED_PAD src0_sel:WORD_1 src1_sel:DWORD
	s_waitcnt lgkmcnt(0)
	v_lshrrev_b32_e32 v48, 16, v8
	v_lshrrev_b32_e32 v29, 16, v7
	v_fma_f16 v6, v70, v45, -v6
	v_mul_f16_sdwa v45, v71, v8 dst_sel:DWORD dst_unused:UNUSED_PAD src0_sel:WORD_1 src1_sel:DWORD
	v_fma_f16 v52, v81, v5, v52
	v_mul_f16_sdwa v5, v81, v5 dst_sel:DWORD dst_unused:UNUSED_PAD src0_sel:WORD_1 src1_sel:DWORD
	v_fma_f16 v45, v71, v48, -v45
	v_mul_f16_sdwa v48, v71, v48 dst_sel:DWORD dst_unused:UNUSED_PAD src0_sel:WORD_1 src1_sel:DWORD
	v_fma_f16 v5, v81, v54, -v5
	v_mul_f16_sdwa v54, v82, v29 dst_sel:DWORD dst_unused:UNUSED_PAD src0_sel:WORD_1 src1_sel:DWORD
	v_add_f16_e32 v57, v33, v34
	v_fma_f16 v8, v71, v8, v48
	v_lshrrev_b32_e32 v48, 16, v9
	v_fma_f16 v54, v82, v7, v54
	v_mul_f16_sdwa v7, v82, v7 dst_sel:DWORD dst_unused:UNUSED_PAD src0_sel:WORD_1 src1_sel:DWORD
	v_fma_f16 v57, v57, -0.5, v2
	v_sub_f16_e32 v58, v12, v16
	v_fma_f16 v7, v82, v29, -v7
	v_mul_f16_sdwa v29, v83, v48 dst_sel:DWORD dst_unused:UNUSED_PAD src0_sel:WORD_1 src1_sel:DWORD
	v_fma_f16 v63, v58, s12, v57
	v_sub_f16_e32 v64, v13, v14
	v_sub_f16_e32 v65, v59, v33
	;; [unrolled: 1-line block ×3, first 2 shown]
	v_fma_f16 v57, v58, s0, v57
	v_fma_f16 v29, v83, v9, v29
	v_mul_f16_sdwa v9, v83, v9 dst_sel:DWORD dst_unused:UNUSED_PAD src0_sel:WORD_1 src1_sel:DWORD
	v_fma_f16 v63, v64, s6, v63
	v_add_f16_e32 v65, v65, v66
	v_fma_f16 v57, v64, s7, v57
	v_fma_f16 v9, v83, v48, -v9
	v_add_f16_e32 v48, v2, v59
	v_fma_f16 v63, v65, s1, v63
	v_fma_f16 v57, v65, s1, v57
	v_add_f16_e32 v65, v59, v15
	v_lshrrev_b32_e32 v32, 16, v2
	v_add_f16_e32 v48, v48, v33
	v_fma_f16 v2, v65, -0.5, v2
	v_add_f16_e32 v48, v48, v34
	v_fma_f16 v65, v64, s0, v2
	v_fma_f16 v2, v64, s12, v2
	v_add_f16_e32 v64, v13, v14
	v_add_f16_e32 v48, v48, v15
	v_sub_f16_e32 v66, v33, v59
	v_sub_f16_e32 v67, v34, v15
	v_fma_f16 v64, v64, -0.5, v32
	v_sub_f16_e32 v15, v59, v15
	v_fma_f16 v65, v58, s6, v65
	v_add_f16_e32 v66, v66, v67
	v_fma_f16 v2, v58, s7, v2
	v_fma_f16 v59, v15, s0, v64
	v_sub_f16_e32 v33, v33, v34
	v_fma_f16 v65, v66, s1, v65
	v_fma_f16 v2, v66, s1, v2
	;; [unrolled: 1-line block ×3, first 2 shown]
	v_sub_f16_e32 v59, v12, v13
	v_sub_f16_e32 v66, v16, v14
	v_fma_f16 v64, v15, s12, v64
	v_add_f16_e32 v59, v59, v66
	v_fma_f16 v64, v33, s6, v64
	v_add_f16_e32 v58, v32, v12
	v_fma_f16 v34, v59, s1, v34
	v_fma_f16 v59, v59, s1, v64
	v_add_f16_e32 v64, v12, v16
	v_add_f16_e32 v58, v58, v13
	v_fma_f16 v32, v64, -0.5, v32
	v_add_f16_e32 v58, v58, v14
	v_fma_f16 v64, v33, s12, v32
	v_sub_f16_e32 v12, v13, v12
	v_sub_f16_e32 v13, v14, v16
	v_fma_f16 v14, v33, s0, v32
	v_fma_f16 v64, v15, s7, v64
	;; [unrolled: 1-line block ×3, first 2 shown]
	v_add_f16_e32 v15, v61, v62
	v_add_f16_e32 v58, v58, v16
	;; [unrolled: 1-line block ×3, first 2 shown]
	v_fma_f16 v15, v15, -0.5, v3
	v_sub_f16_e32 v16, v38, v11
	v_fma_f16 v13, v12, s1, v64
	v_fma_f16 v32, v16, s12, v15
	v_sub_f16_e32 v33, v39, v10
	v_sub_f16_e32 v64, v60, v61
	;; [unrolled: 1-line block ×3, first 2 shown]
	v_fma_f16 v15, v16, s0, v15
	v_fma_f16 v32, v33, s6, v32
	v_add_f16_e32 v64, v64, v66
	v_fma_f16 v15, v33, s7, v15
	v_fma_f16 v12, v12, s1, v14
	v_add_f16_e32 v14, v3, v60
	;; [unrolled: 3-line block ×3, first 2 shown]
	v_lshrrev_b32_e32 v37, 16, v3
	v_add_f16_e32 v14, v14, v61
	v_fma_f16 v3, v64, -0.5, v3
	v_add_f16_e32 v14, v14, v62
	v_fma_f16 v64, v33, s0, v3
	v_sub_f16_e32 v66, v61, v60
	v_sub_f16_e32 v67, v62, v40
	v_fma_f16 v3, v33, s12, v3
	v_add_f16_e32 v33, v39, v10
	v_add_f16_e32 v14, v14, v40
	v_fma_f16 v64, v16, s6, v64
	v_add_f16_e32 v66, v66, v67
	v_fma_f16 v3, v16, s7, v3
	v_fma_f16 v33, v33, -0.5, v37
	v_sub_f16_e32 v40, v60, v40
	v_fma_f16 v64, v66, s1, v64
	v_fma_f16 v3, v66, s1, v3
	v_fma_f16 v60, v40, s0, v33
	v_sub_f16_e32 v61, v61, v62
	v_sub_f16_e32 v62, v38, v39
	;; [unrolled: 1-line block ×3, first 2 shown]
	v_fma_f16 v33, v40, s12, v33
	v_add_f16_e32 v16, v37, v38
	v_fma_f16 v60, v61, s7, v60
	v_add_f16_e32 v62, v62, v66
	;; [unrolled: 2-line block ×3, first 2 shown]
	v_fma_f16 v60, v62, s1, v60
	v_fma_f16 v33, v62, s1, v33
	v_add_f16_e32 v62, v38, v11
	v_add_f16_e32 v16, v16, v10
	v_fma_f16 v37, v62, -0.5, v37
	v_sub_f16_e32 v38, v39, v38
	v_sub_f16_e32 v10, v10, v11
	v_fma_f16 v62, v61, s12, v37
	v_add_f16_e32 v10, v38, v10
	v_add_f16_e32 v38, v41, v43
	v_fma_f16 v62, v40, s7, v62
	v_fma_f16 v37, v61, s0, v37
	v_fma_f16 v38, v38, -0.5, v20
	v_sub_f16_e32 v39, v22, v44
	v_add_f16_e32 v16, v16, v11
	v_fma_f16 v11, v10, s1, v62
	v_fma_f16 v37, v40, s6, v37
	;; [unrolled: 1-line block ×3, first 2 shown]
	v_sub_f16_e32 v61, v24, v26
	v_sub_f16_e32 v62, v19, v41
	;; [unrolled: 1-line block ×3, first 2 shown]
	v_fma_f16 v38, v39, s0, v38
	v_fma_f16 v40, v61, s6, v40
	v_add_f16_e32 v62, v62, v66
	v_fma_f16 v38, v61, s7, v38
	v_fma_f16 v40, v62, s1, v40
	;; [unrolled: 1-line block ×3, first 2 shown]
	v_add_f16_e32 v62, v19, v28
	v_lshrrev_b32_e32 v42, 16, v20
	v_fma_f16 v10, v10, s1, v37
	v_add_f16_e32 v37, v20, v19
	v_fma_f16 v20, v62, -0.5, v20
	v_add_f16_e32 v37, v37, v41
	v_fma_f16 v62, v61, s0, v20
	v_sub_f16_e32 v66, v41, v19
	v_sub_f16_e32 v67, v43, v28
	v_fma_f16 v20, v61, s12, v20
	v_add_f16_e32 v61, v24, v26
	v_add_f16_e32 v37, v37, v43
	v_fma_f16 v62, v39, s6, v62
	v_add_f16_e32 v66, v66, v67
	v_fma_f16 v20, v39, s7, v20
	v_fma_f16 v61, v61, -0.5, v42
	v_sub_f16_e32 v19, v19, v28
	v_add_f16_e32 v37, v37, v28
	v_fma_f16 v62, v66, s1, v62
	v_fma_f16 v20, v66, s1, v20
	v_fma_f16 v28, v19, s0, v61
	v_sub_f16_e32 v41, v41, v43
	v_sub_f16_e32 v43, v22, v24
	;; [unrolled: 1-line block ×3, first 2 shown]
	v_fma_f16 v61, v19, s12, v61
	v_fma_f16 v28, v41, s7, v28
	v_add_f16_e32 v43, v43, v66
	v_fma_f16 v61, v41, s6, v61
	v_add_f16_e32 v39, v42, v22
	v_fma_f16 v28, v43, s1, v28
	v_fma_f16 v43, v43, s1, v61
	v_add_f16_e32 v61, v22, v44
	v_add_f16_e32 v39, v39, v24
	v_fma_f16 v42, v61, -0.5, v42
	v_add_f16_e32 v39, v39, v26
	v_fma_f16 v61, v41, s12, v42
	v_sub_f16_e32 v22, v24, v22
	v_sub_f16_e32 v24, v26, v44
	v_fma_f16 v26, v41, s0, v42
	v_fma_f16 v61, v19, s7, v61
	;; [unrolled: 1-line block ×3, first 2 shown]
	v_add_f16_e32 v26, v49, v51
	v_add_f16_e32 v22, v22, v24
	v_fma_f16 v26, v26, -0.5, v21
	v_sub_f16_e32 v41, v23, v18
	v_add_f16_e32 v39, v39, v44
	v_fma_f16 v24, v22, s1, v61
	v_fma_f16 v42, v41, s12, v26
	v_sub_f16_e32 v44, v25, v27
	v_sub_f16_e32 v61, v46, v49
	;; [unrolled: 1-line block ×3, first 2 shown]
	v_fma_f16 v26, v41, s0, v26
	v_fma_f16 v42, v44, s6, v42
	v_add_f16_e32 v61, v61, v66
	v_fma_f16 v26, v44, s7, v26
	v_fma_f16 v42, v61, s1, v42
	;; [unrolled: 1-line block ×3, first 2 shown]
	v_add_f16_e32 v61, v46, v53
	v_lshrrev_b32_e32 v47, 16, v21
	v_fma_f16 v19, v22, s1, v19
	v_add_f16_e32 v22, v21, v46
	v_fma_f16 v21, v61, -0.5, v21
	v_add_f16_e32 v22, v22, v49
	v_fma_f16 v61, v44, s0, v21
	v_fma_f16 v21, v44, s12, v21
	v_add_f16_e32 v44, v25, v27
	v_add_f16_e32 v22, v22, v51
	v_sub_f16_e32 v66, v49, v46
	v_sub_f16_e32 v67, v51, v53
	v_fma_f16 v44, v44, -0.5, v47
	v_sub_f16_e32 v46, v46, v53
	v_add_f16_e32 v22, v22, v53
	v_fma_f16 v61, v41, s6, v61
	v_add_f16_e32 v66, v66, v67
	v_fma_f16 v21, v41, s7, v21
	v_fma_f16 v53, v46, s0, v44
	v_sub_f16_e32 v49, v49, v51
	v_fma_f16 v61, v66, s1, v61
	v_fma_f16 v21, v66, s1, v21
	;; [unrolled: 1-line block ×3, first 2 shown]
	v_sub_f16_e32 v53, v23, v25
	v_sub_f16_e32 v66, v18, v27
	v_fma_f16 v44, v46, s12, v44
	v_add_f16_e32 v41, v47, v23
	v_add_f16_e32 v53, v53, v66
	v_fma_f16 v44, v49, s6, v44
	v_add_f16_e32 v41, v41, v25
	v_fma_f16 v51, v53, s1, v51
	v_fma_f16 v44, v53, s1, v44
	v_add_f16_e32 v53, v23, v18
	v_add_f16_e32 v41, v41, v27
	v_fma_f16 v47, v53, -0.5, v47
	v_add_f16_e32 v41, v41, v18
	v_fma_f16 v53, v49, s12, v47
	v_sub_f16_e32 v23, v25, v23
	v_sub_f16_e32 v18, v27, v18
	v_fma_f16 v25, v49, s0, v47
	v_add_f16_e32 v27, v36, v17
	v_fma_f16 v53, v46, s7, v53
	v_add_f16_e32 v18, v23, v18
	v_fma_f16 v25, v46, s6, v25
	v_fma_f16 v27, v27, -0.5, v0
	v_sub_f16_e32 v46, v30, v45
	v_fma_f16 v23, v18, s1, v53
	v_fma_f16 v47, v46, s12, v27
	v_sub_f16_e32 v49, v4, v6
	v_sub_f16_e32 v53, v55, v36
	;; [unrolled: 1-line block ×3, first 2 shown]
	v_fma_f16 v27, v46, s0, v27
	v_fma_f16 v47, v49, s6, v47
	v_add_f16_e32 v53, v53, v66
	v_fma_f16 v27, v49, s7, v27
	v_fma_f16 v18, v18, s1, v25
	v_add_f16_e32 v25, v0, v55
	v_fma_f16 v47, v53, s1, v47
	v_fma_f16 v27, v53, s1, v27
	v_add_f16_e32 v53, v55, v8
	v_lshrrev_b32_e32 v35, 16, v0
	v_add_f16_e32 v25, v25, v36
	v_fma_f16 v0, v53, -0.5, v0
	v_add_f16_e32 v25, v25, v17
	v_fma_f16 v53, v49, s0, v0
	v_fma_f16 v0, v49, s12, v0
	v_add_f16_e32 v49, v4, v6
	v_add_f16_e32 v25, v25, v8
	v_sub_f16_e32 v66, v36, v55
	v_sub_f16_e32 v67, v17, v8
	v_fma_f16 v49, v49, -0.5, v35
	v_sub_f16_e32 v8, v55, v8
	v_fma_f16 v53, v46, s6, v53
	v_add_f16_e32 v66, v66, v67
	v_fma_f16 v0, v46, s7, v0
	v_fma_f16 v55, v8, s0, v49
	v_sub_f16_e32 v17, v36, v17
	v_fma_f16 v53, v66, s1, v53
	v_fma_f16 v0, v66, s1, v0
	;; [unrolled: 1-line block ×3, first 2 shown]
	v_sub_f16_e32 v55, v30, v4
	v_sub_f16_e32 v66, v45, v6
	v_fma_f16 v49, v8, s12, v49
	v_add_f16_e32 v55, v55, v66
	v_fma_f16 v49, v17, s6, v49
	v_fma_f16 v36, v55, s1, v36
	;; [unrolled: 1-line block ×3, first 2 shown]
	v_add_f16_e32 v55, v30, v45
	v_add_f16_e32 v46, v35, v30
	v_fma_f16 v35, v55, -0.5, v35
	v_add_f16_e32 v46, v46, v4
	v_fma_f16 v55, v17, s12, v35
	v_fma_f16 v17, v17, s0, v35
	v_add_f16_e32 v46, v46, v6
	v_fma_f16 v55, v8, s7, v55
	v_sub_f16_e32 v4, v4, v30
	v_sub_f16_e32 v6, v6, v45
	v_fma_f16 v8, v8, s6, v17
	v_add_f16_e32 v17, v52, v54
	v_add_f16_e32 v4, v4, v6
	v_fma_f16 v17, v17, -0.5, v1
	v_sub_f16_e32 v30, v31, v9
	v_add_f16_e32 v46, v46, v45
	v_fma_f16 v6, v4, s1, v55
	v_fma_f16 v35, v30, s12, v17
	v_sub_f16_e32 v45, v5, v7
	v_sub_f16_e32 v55, v56, v52
	;; [unrolled: 1-line block ×3, first 2 shown]
	v_fma_f16 v17, v30, s0, v17
	v_fma_f16 v35, v45, s6, v35
	v_add_f16_e32 v55, v55, v66
	v_fma_f16 v17, v45, s7, v17
	v_fma_f16 v4, v4, s1, v8
	v_add_f16_e32 v8, v1, v56
	;; [unrolled: 3-line block ×3, first 2 shown]
	v_lshrrev_b32_e32 v50, 16, v1
	v_add_f16_e32 v8, v8, v52
	v_fma_f16 v1, v55, -0.5, v1
	v_add_f16_e32 v8, v8, v54
	v_fma_f16 v55, v45, s0, v1
	v_fma_f16 v1, v45, s12, v1
	v_add_f16_e32 v45, v5, v7
	v_add_f16_e32 v8, v8, v29
	v_sub_f16_e32 v66, v52, v56
	v_sub_f16_e32 v67, v54, v29
	v_fma_f16 v45, v45, -0.5, v50
	v_sub_f16_e32 v29, v56, v29
	v_fma_f16 v55, v30, s6, v55
	v_add_f16_e32 v66, v66, v67
	v_fma_f16 v1, v30, s7, v1
	v_fma_f16 v56, v29, s0, v45
	v_sub_f16_e32 v52, v52, v54
	v_fma_f16 v55, v66, s1, v55
	v_fma_f16 v1, v66, s1, v1
	;; [unrolled: 1-line block ×3, first 2 shown]
	v_sub_f16_e32 v56, v31, v5
	v_sub_f16_e32 v66, v9, v7
	v_fma_f16 v45, v29, s12, v45
	v_add_f16_e32 v30, v50, v31
	v_add_f16_e32 v56, v56, v66
	v_fma_f16 v45, v52, s6, v45
	v_add_f16_e32 v30, v30, v5
	v_fma_f16 v54, v56, s1, v54
	v_fma_f16 v45, v56, s1, v45
	v_add_f16_e32 v56, v31, v9
	v_add_f16_e32 v30, v30, v7
	v_fma_f16 v50, v56, -0.5, v50
	v_add_f16_e32 v30, v30, v9
	v_fma_f16 v56, v52, s12, v50
	v_sub_f16_e32 v5, v5, v31
	v_sub_f16_e32 v7, v7, v9
	v_fma_f16 v9, v52, s0, v50
	v_pack_b32_f16 v2, v2, v12
	v_fma_f16 v56, v29, s7, v56
	v_add_f16_e32 v5, v5, v7
	v_fma_f16 v9, v29, s6, v9
	ds_write_b32 v142, v2 offset:9000
	v_pack_b32_f16 v2, v57, v59
	v_fma_f16 v7, v5, s1, v56
	v_fma_f16 v5, v5, s1, v9
	v_pack_b32_f16 v9, v48, v58
	v_pack_b32_f16 v29, v63, v34
	;; [unrolled: 1-line block ×3, first 2 shown]
	ds_write_b32 v142, v2 offset:12000
	v_pack_b32_f16 v2, v14, v16
	ds_write_b32 v142, v29 offset:3000
	ds_write_b32 v142, v13 offset:6000
	ds_write2_b32 v142, v9, v2 offset1:125
	v_pack_b32_f16 v2, v32, v60
	v_pack_b32_f16 v12, v40, v28
	;; [unrolled: 1-line block ×3, first 2 shown]
	ds_write2_b32 v177, v2, v12 offset0:107 offset1:232
	v_pack_b32_f16 v2, v62, v24
	v_pack_b32_f16 v3, v3, v10
	ds_write2_b32 v144, v9, v2 offset0:89 offset1:214
	v_pack_b32_f16 v2, v20, v19
	v_pack_b32_f16 v10, v15, v33
	ds_write2_b32 v178, v3, v2 offset0:71 offset1:196
	v_pack_b32_f16 v2, v38, v43
	v_pack_b32_f16 v11, v37, v39
	ds_write2_b32 v146, v10, v2 offset0:53 offset1:178
	v_pack_b32_f16 v2, v22, v41
	v_pack_b32_f16 v3, v61, v23
	ds_write2_b32 v138, v11, v2 offset0:122 offset1:247
	ds_write_b32 v142, v3 offset:7500
	v_pack_b32_f16 v3, v21, v18
	v_pack_b32_f16 v2, v42, v51
	ds_write_b32 v142, v3 offset:10500
	v_pack_b32_f16 v3, v26, v44
	v_pack_b32_f16 v9, v47, v36
	ds_write_b32 v142, v3 offset:13500
	v_pack_b32_f16 v3, v25, v46
	ds_write2_b32 v189, v2, v9 offset0:101 offset1:226
	v_pack_b32_f16 v2, v53, v6
	v_pack_b32_f16 v6, v8, v30
	;; [unrolled: 1-line block ×3, first 2 shown]
	ds_write2_b32 v127, v3, v6 offset0:116 offset1:241
	v_pack_b32_f16 v3, v35, v54
	v_pack_b32_f16 v1, v1, v5
	;; [unrolled: 1-line block ×3, first 2 shown]
	ds_write_b32 v142, v3 offset:5500
	v_pack_b32_f16 v3, v55, v7
	ds_write2_b32 v139, v0, v1 offset0:62 offset1:187
	v_pack_b32_f16 v0, v17, v45
	ds_write2_b32 v118, v2, v3 offset0:80 offset1:205
	ds_write2_b32 v106, v4, v0 offset0:44 offset1:169
	s_waitcnt lgkmcnt(0)
	s_barrier
	ds_read2_b32 v[0:1], v142 offset1:125
	s_mov_b32 s2, 0x9cbd821e
	s_mov_b32 s3, 0x3f3179ec
	s_movk_i32 s6, 0x1ff
	s_movk_i32 s7, 0xffe
	s_waitcnt lgkmcnt(0)
	v_lshrrev_b32_e32 v8, 16, v0
	v_mul_f16_sdwa v2, v140, v8 dst_sel:DWORD dst_unused:UNUSED_PAD src0_sel:WORD_1 src1_sel:DWORD
	v_fma_f16 v2, v140, v0, v2
	v_cvt_f32_f16_e32 v4, v2
	v_mad_u64_u32 v[2:3], s[0:1], s10, v96, 0
	v_mul_f16_sdwa v0, v140, v0 dst_sel:DWORD dst_unused:UNUSED_PAD src0_sel:WORD_1 src1_sel:DWORD
	v_cvt_f64_f32_e32 v[4:5], v4
	v_fma_f16 v0, v140, v8, -v0
	s_movk_i32 s10, 0x40f
	v_mul_f64 v[4:5], v[4:5], s[2:3]
	v_mad_u64_u32 v[6:7], s[0:1], s11, v96, v[3:4]
	v_and_or_b32 v4, v5, s6, v4
	v_cmp_ne_u32_e32 vcc, 0, v4
	v_mov_b32_e32 v3, v6
	v_cndmask_b32_e64 v4, 0, 1, vcc
	v_lshrrev_b32_e32 v6, 8, v5
	v_bfe_u32 v7, v5, 20, 11
	v_and_or_b32 v4, v6, s7, v4
	v_sub_u32_e32 v9, 0x3f1, v7
	v_or_b32_e32 v6, 0x1000, v4
	v_med3_i32 v9, v9, 0, 13
	v_lshrrev_b32_e32 v10, v9, v6
	v_lshlrev_b32_e32 v9, v9, v10
	v_cmp_ne_u32_e32 vcc, v9, v6
	v_cndmask_b32_e64 v6, 0, 1, vcc
	v_add_u32_e32 v9, 0xfffffc10, v7
	v_or_b32_e32 v6, v10, v6
	v_lshl_or_b32 v7, v9, 12, v4
	v_cmp_gt_i32_e32 vcc, 1, v9
	v_cndmask_b32_e32 v6, v7, v6, vcc
	v_and_b32_e32 v7, 7, v6
	v_cmp_lt_i32_e32 vcc, 5, v7
	v_cmp_eq_u32_e64 s[0:1], 3, v7
	v_cvt_f32_f16_e32 v7, v0
	v_lshrrev_b32_e32 v6, 2, v6
	s_or_b64 vcc, s[0:1], vcc
	v_addc_co_u32_e32 v8, vcc, 0, v6, vcc
	v_cvt_f64_f32_e32 v[6:7], v7
	v_mov_b32_e32 v0, 0x7c00
	v_cmp_gt_i32_e32 vcc, 31, v9
	v_cndmask_b32_e32 v8, v0, v8, vcc
	v_mul_f64 v[6:7], v[6:7], s[2:3]
	v_cmp_ne_u32_e32 vcc, 0, v4
	v_cndmask_b32_e64 v4, 0, 1, vcc
	v_lshl_or_b32 v4, v4, 9, v0
	v_cmp_eq_u32_e32 vcc, s10, v9
	v_cndmask_b32_e32 v4, v8, v4, vcc
	v_lshrrev_b32_e32 v5, 16, v5
	s_mov_b32 s11, 0x8000
	v_and_or_b32 v10, v5, s11, v4
	v_and_or_b32 v4, v7, s6, v6
	v_cmp_ne_u32_e32 vcc, 0, v4
	v_cndmask_b32_e64 v4, 0, 1, vcc
	v_lshrrev_b32_e32 v5, 8, v7
	v_bfe_u32 v6, v7, 20, 11
	v_and_or_b32 v4, v5, s7, v4
	v_sub_u32_e32 v8, 0x3f1, v6
	v_or_b32_e32 v5, 0x1000, v4
	v_med3_i32 v8, v8, 0, 13
	v_lshrrev_b32_e32 v9, v8, v5
	v_lshlrev_b32_e32 v8, v8, v9
	v_cmp_ne_u32_e32 vcc, v8, v5
	v_cndmask_b32_e64 v5, 0, 1, vcc
	v_add_u32_e32 v6, 0xfffffc10, v6
	v_or_b32_e32 v5, v9, v5
	v_lshl_or_b32 v8, v6, 12, v4
	v_cmp_gt_i32_e32 vcc, 1, v6
	v_cndmask_b32_e32 v5, v8, v5, vcc
	v_and_b32_e32 v8, 7, v5
	v_cmp_lt_i32_e32 vcc, 5, v8
	v_cmp_eq_u32_e64 s[0:1], 3, v8
	v_lshrrev_b32_e32 v5, 2, v5
	s_or_b64 vcc, s[0:1], vcc
	v_addc_co_u32_e32 v5, vcc, 0, v5, vcc
	v_cmp_gt_i32_e32 vcc, 31, v6
	v_cndmask_b32_e32 v8, v0, v5, vcc
	v_cmp_ne_u32_e32 vcc, 0, v4
	v_cndmask_b32_e64 v4, 0, 1, vcc
	v_lshl_or_b32 v9, v4, 9, v0
	v_cmp_eq_u32_e32 vcc, s10, v6
	v_cndmask_b32_e32 v11, v8, v9, vcc
	ds_read2_b32 v[8:9], v145 offset0:98 offset1:223
	v_mad_u64_u32 v[4:5], s[0:1], s8, v137, 0
	v_lshrrev_b32_e32 v7, 16, v7
	v_and_or_b32 v11, v7, s11, v11
	v_mad_u64_u32 v[5:6], s[0:1], s9, v137, v[5:6]
	s_waitcnt lgkmcnt(0)
	v_lshrrev_b32_e32 v12, 16, v8
	v_mul_f16_sdwa v6, v136, v12 dst_sel:DWORD dst_unused:UNUSED_PAD src0_sel:WORD_1 src1_sel:DWORD
	v_fma_f16 v6, v136, v8, v6
	v_cvt_f32_f16_e32 v6, v6
	v_lshlrev_b64 v[2:3], 2, v[2:3]
	v_and_b32_e32 v10, 0xffff, v10
	v_lshl_or_b32 v10, v11, 16, v10
	v_cvt_f64_f32_e32 v[6:7], v6
	v_mov_b32_e32 v11, s5
	v_add_co_u32_e32 v13, vcc, s4, v2
	v_mul_f64 v[6:7], v[6:7], s[2:3]
	v_addc_co_u32_e32 v11, vcc, v11, v3, vcc
	v_lshlrev_b64 v[2:3], 2, v[4:5]
	v_mul_f16_sdwa v8, v136, v8 dst_sel:DWORD dst_unused:UNUSED_PAD src0_sel:WORD_1 src1_sel:DWORD
	v_add_co_u32_e32 v2, vcc, v13, v2
	v_addc_co_u32_e32 v3, vcc, v11, v3, vcc
	v_and_or_b32 v4, v7, s6, v6
	v_cmp_ne_u32_e32 vcc, 0, v4
	v_cndmask_b32_e64 v4, 0, 1, vcc
	v_lshrrev_b32_e32 v5, 8, v7
	v_and_or_b32 v6, v5, s7, v4
	v_bfe_u32 v5, v7, 20, 11
	global_store_dword v[2:3], v10, off
	v_sub_u32_e32 v10, 0x3f1, v5
	v_or_b32_e32 v4, 0x1000, v6
	v_med3_i32 v10, v10, 0, 13
	v_lshrrev_b32_e32 v11, v10, v4
	v_lshlrev_b32_e32 v10, v10, v11
	v_cmp_ne_u32_e32 vcc, v10, v4
	v_fma_f16 v8, v136, v12, -v8
	v_cndmask_b32_e64 v4, 0, 1, vcc
	v_add_u32_e32 v10, 0xfffffc10, v5
	v_cvt_f32_f16_e32 v8, v8
	v_or_b32_e32 v4, v11, v4
	v_lshl_or_b32 v5, v10, 12, v6
	v_cmp_gt_i32_e32 vcc, 1, v10
	v_cndmask_b32_e32 v4, v5, v4, vcc
	v_and_b32_e32 v5, 7, v4
	v_cmp_lt_i32_e32 vcc, 5, v5
	v_cmp_eq_u32_e64 s[0:1], 3, v5
	v_lshrrev_b32_e32 v11, 2, v4
	v_cvt_f64_f32_e32 v[4:5], v8
	s_or_b64 vcc, s[0:1], vcc
	v_addc_co_u32_e32 v8, vcc, 0, v11, vcc
	v_mul_f64 v[4:5], v[4:5], s[2:3]
	v_cmp_gt_i32_e32 vcc, 31, v10
	v_cndmask_b32_e32 v8, v0, v8, vcc
	v_cmp_ne_u32_e32 vcc, 0, v6
	v_cndmask_b32_e64 v6, 0, 1, vcc
	v_lshl_or_b32 v6, v6, 9, v0
	v_cmp_eq_u32_e32 vcc, s10, v10
	v_cndmask_b32_e32 v6, v8, v6, vcc
	v_and_or_b32 v4, v5, s6, v4
	v_lshrrev_b32_e32 v7, 16, v7
	v_cmp_ne_u32_e32 vcc, 0, v4
	v_and_or_b32 v8, v7, s11, v6
	v_cndmask_b32_e64 v4, 0, 1, vcc
	v_lshrrev_b32_e32 v6, 8, v5
	v_bfe_u32 v7, v5, 20, 11
	v_and_or_b32 v4, v6, s7, v4
	v_sub_u32_e32 v10, 0x3f1, v7
	v_or_b32_e32 v6, 0x1000, v4
	v_med3_i32 v10, v10, 0, 13
	v_lshrrev_b32_e32 v11, v10, v6
	v_lshlrev_b32_e32 v10, v10, v11
	v_cmp_ne_u32_e32 vcc, v10, v6
	v_cndmask_b32_e64 v6, 0, 1, vcc
	v_add_u32_e32 v10, 0xfffffc10, v7
	v_or_b32_e32 v6, v11, v6
	v_lshl_or_b32 v7, v10, 12, v4
	v_cmp_gt_i32_e32 vcc, 1, v10
	v_cndmask_b32_e32 v6, v7, v6, vcc
	v_and_b32_e32 v7, 7, v6
	v_cmp_lt_i32_e32 vcc, 5, v7
	v_cmp_eq_u32_e64 s[0:1], 3, v7
	v_lshrrev_b32_e32 v6, 2, v6
	s_or_b64 vcc, s[0:1], vcc
	v_addc_co_u32_e32 v6, vcc, 0, v6, vcc
	v_cmp_gt_i32_e32 vcc, 31, v10
	v_cndmask_b32_e32 v11, v0, v6, vcc
	ds_read2_b32 v[6:7], v143 offset0:68 offset1:193
	v_cmp_ne_u32_e32 vcc, 0, v4
	v_cndmask_b32_e64 v4, 0, 1, vcc
	v_lshl_or_b32 v4, v4, 9, v0
	v_cmp_eq_u32_e32 vcc, s10, v10
	s_waitcnt lgkmcnt(0)
	v_lshrrev_b32_e32 v10, 16, v6
	v_cndmask_b32_e32 v4, v11, v4, vcc
	v_mul_f16_sdwa v11, v134, v10 dst_sel:DWORD dst_unused:UNUSED_PAD src0_sel:WORD_1 src1_sel:DWORD
	v_fma_f16 v11, v134, v6, v11
	v_cvt_f32_f16_e32 v11, v11
	v_lshrrev_b32_e32 v5, 16, v5
	v_and_or_b32 v4, v5, s11, v4
	v_and_b32_e32 v5, 0xffff, v8
	v_lshl_or_b32 v8, v4, 16, v5
	v_cvt_f64_f32_e32 v[4:5], v11
	s_mul_i32 s0, s9, 0x1388
	s_mul_hi_u32 s4, s8, 0x1388
	s_add_i32 s4, s4, s0
	v_mul_f64 v[4:5], v[4:5], s[2:3]
	s_mul_i32 s5, s8, 0x1388
	v_mov_b32_e32 v11, s4
	v_add_co_u32_e32 v2, vcc, s5, v2
	v_addc_co_u32_e32 v3, vcc, v3, v11, vcc
	global_store_dword v[2:3], v8, off
	v_and_or_b32 v4, v5, s6, v4
	v_cmp_ne_u32_e32 vcc, 0, v4
	v_cndmask_b32_e64 v4, 0, 1, vcc
	v_lshrrev_b32_e32 v8, 8, v5
	v_bfe_u32 v11, v5, 20, 11
	v_and_or_b32 v4, v8, s7, v4
	v_sub_u32_e32 v12, 0x3f1, v11
	v_or_b32_e32 v8, 0x1000, v4
	v_med3_i32 v12, v12, 0, 13
	v_lshrrev_b32_e32 v13, v12, v8
	v_lshlrev_b32_e32 v12, v12, v13
	v_mul_f16_sdwa v6, v134, v6 dst_sel:DWORD dst_unused:UNUSED_PAD src0_sel:WORD_1 src1_sel:DWORD
	v_cmp_ne_u32_e32 vcc, v12, v8
	v_fma_f16 v6, v134, v10, -v6
	v_cndmask_b32_e64 v8, 0, 1, vcc
	v_add_u32_e32 v12, 0xfffffc10, v11
	v_cvt_f32_f16_e32 v6, v6
	v_or_b32_e32 v8, v13, v8
	v_lshl_or_b32 v11, v12, 12, v4
	v_cmp_gt_i32_e32 vcc, 1, v12
	v_cndmask_b32_e32 v8, v11, v8, vcc
	v_and_b32_e32 v11, 7, v8
	v_cmp_lt_i32_e32 vcc, 5, v11
	v_cmp_eq_u32_e64 s[0:1], 3, v11
	v_cvt_f64_f32_e32 v[10:11], v6
	v_lshrrev_b32_e32 v8, 2, v8
	s_or_b64 vcc, s[0:1], vcc
	v_addc_co_u32_e32 v6, vcc, 0, v8, vcc
	v_mul_f64 v[10:11], v[10:11], s[2:3]
	v_cmp_gt_i32_e32 vcc, 31, v12
	v_cndmask_b32_e32 v6, v0, v6, vcc
	v_cmp_ne_u32_e32 vcc, 0, v4
	v_cndmask_b32_e64 v4, 0, 1, vcc
	v_lshl_or_b32 v4, v4, 9, v0
	v_cmp_eq_u32_e32 vcc, s10, v12
	v_cndmask_b32_e32 v4, v6, v4, vcc
	v_lshrrev_b32_e32 v5, 16, v5
	v_and_or_b32 v6, v5, s11, v4
	v_and_or_b32 v4, v11, s6, v10
	v_cmp_ne_u32_e32 vcc, 0, v4
	v_cndmask_b32_e64 v4, 0, 1, vcc
	v_lshrrev_b32_e32 v5, 8, v11
	v_bfe_u32 v8, v11, 20, 11
	v_and_or_b32 v4, v5, s7, v4
	v_sub_u32_e32 v10, 0x3f1, v8
	v_or_b32_e32 v5, 0x1000, v4
	v_med3_i32 v10, v10, 0, 13
	v_lshrrev_b32_e32 v12, v10, v5
	v_lshlrev_b32_e32 v10, v10, v12
	v_cmp_ne_u32_e32 vcc, v10, v5
	v_cndmask_b32_e64 v5, 0, 1, vcc
	v_add_u32_e32 v8, 0xfffffc10, v8
	v_or_b32_e32 v5, v12, v5
	v_lshl_or_b32 v10, v8, 12, v4
	v_cmp_gt_i32_e32 vcc, 1, v8
	v_cndmask_b32_e32 v5, v10, v5, vcc
	v_and_b32_e32 v10, 7, v5
	v_cmp_lt_i32_e32 vcc, 5, v10
	v_cmp_eq_u32_e64 s[0:1], 3, v10
	v_lshrrev_b32_e32 v10, 16, v1
	v_lshrrev_b32_e32 v5, 2, v5
	s_or_b64 vcc, s[0:1], vcc
	v_mul_f16_sdwa v12, v133, v10 dst_sel:DWORD dst_unused:UNUSED_PAD src0_sel:WORD_1 src1_sel:DWORD
	v_addc_co_u32_e32 v5, vcc, 0, v5, vcc
	v_fma_f16 v12, v133, v1, v12
	v_cmp_gt_i32_e32 vcc, 31, v8
	v_cvt_f32_f16_e32 v12, v12
	v_cndmask_b32_e32 v5, v0, v5, vcc
	v_cmp_ne_u32_e32 vcc, 0, v4
	v_cndmask_b32_e64 v4, 0, 1, vcc
	v_lshl_or_b32 v4, v4, 9, v0
	v_cmp_eq_u32_e32 vcc, s10, v8
	v_cndmask_b32_e32 v8, v5, v4, vcc
	v_cvt_f64_f32_e32 v[4:5], v12
	v_lshrrev_b32_e32 v11, 16, v11
	v_and_or_b32 v8, v11, s11, v8
	v_and_b32_e32 v6, 0xffff, v6
	v_mul_f64 v[4:5], v[4:5], s[2:3]
	v_lshl_or_b32 v6, v8, 16, v6
	v_mov_b32_e32 v8, s4
	v_add_co_u32_e32 v2, vcc, s5, v2
	v_addc_co_u32_e32 v3, vcc, v3, v8, vcc
	global_store_dword v[2:3], v6, off
	v_and_or_b32 v4, v5, s6, v4
	v_cmp_ne_u32_e32 vcc, 0, v4
	v_cndmask_b32_e64 v4, 0, 1, vcc
	v_lshrrev_b32_e32 v6, 8, v5
	v_bfe_u32 v8, v5, 20, 11
	v_and_or_b32 v4, v6, s7, v4
	v_sub_u32_e32 v11, 0x3f1, v8
	v_or_b32_e32 v6, 0x1000, v4
	v_med3_i32 v11, v11, 0, 13
	v_lshrrev_b32_e32 v12, v11, v6
	v_lshlrev_b32_e32 v11, v11, v12
	v_mul_f16_sdwa v1, v133, v1 dst_sel:DWORD dst_unused:UNUSED_PAD src0_sel:WORD_1 src1_sel:DWORD
	v_cmp_ne_u32_e32 vcc, v11, v6
	v_fma_f16 v1, v133, v10, -v1
	v_cndmask_b32_e64 v6, 0, 1, vcc
	v_add_u32_e32 v8, 0xfffffc10, v8
	v_cvt_f32_f16_e32 v1, v1
	v_or_b32_e32 v6, v12, v6
	v_lshl_or_b32 v11, v8, 12, v4
	v_cmp_gt_i32_e32 vcc, 1, v8
	v_cndmask_b32_e32 v6, v11, v6, vcc
	v_and_b32_e32 v11, 7, v6
	v_cmp_lt_i32_e32 vcc, 5, v11
	v_cmp_eq_u32_e64 s[0:1], 3, v11
	v_cvt_f64_f32_e32 v[10:11], v1
	v_lshrrev_b32_e32 v6, 2, v6
	s_or_b64 vcc, s[0:1], vcc
	v_addc_co_u32_e32 v1, vcc, 0, v6, vcc
	v_mul_f64 v[10:11], v[10:11], s[2:3]
	v_cmp_gt_i32_e32 vcc, 31, v8
	v_cndmask_b32_e32 v1, v0, v1, vcc
	v_cmp_ne_u32_e32 vcc, 0, v4
	v_cndmask_b32_e64 v4, 0, 1, vcc
	v_lshl_or_b32 v4, v4, 9, v0
	v_cmp_eq_u32_e32 vcc, s10, v8
	v_cndmask_b32_e32 v1, v1, v4, vcc
	v_lshrrev_b32_e32 v4, 16, v5
	v_and_or_b32 v1, v4, s11, v1
	v_and_or_b32 v4, v11, s6, v10
	v_cmp_ne_u32_e32 vcc, 0, v4
	v_cndmask_b32_e64 v4, 0, 1, vcc
	v_lshrrev_b32_e32 v5, 8, v11
	v_bfe_u32 v6, v11, 20, 11
	v_and_or_b32 v4, v5, s7, v4
	v_sub_u32_e32 v8, 0x3f1, v6
	v_or_b32_e32 v5, 0x1000, v4
	v_med3_i32 v8, v8, 0, 13
	v_lshrrev_b32_e32 v10, v8, v5
	v_lshlrev_b32_e32 v8, v8, v10
	v_cmp_ne_u32_e32 vcc, v8, v5
	v_cndmask_b32_e64 v5, 0, 1, vcc
	v_add_u32_e32 v6, 0xfffffc10, v6
	v_or_b32_e32 v5, v10, v5
	v_lshl_or_b32 v8, v6, 12, v4
	v_cmp_gt_i32_e32 vcc, 1, v6
	v_cndmask_b32_e32 v5, v8, v5, vcc
	v_and_b32_e32 v8, 7, v5
	v_cmp_lt_i32_e32 vcc, 5, v8
	v_cmp_eq_u32_e64 s[0:1], 3, v8
	v_lshrrev_b32_e32 v5, 2, v5
	s_or_b64 vcc, s[0:1], vcc
	v_addc_co_u32_e32 v5, vcc, 0, v5, vcc
	v_cmp_gt_i32_e32 vcc, 31, v6
	v_cndmask_b32_e32 v5, v0, v5, vcc
	v_cmp_ne_u32_e32 vcc, 0, v4
	v_cndmask_b32_e64 v4, 0, 1, vcc
	v_lshl_or_b32 v4, v4, 9, v0
	v_cmp_eq_u32_e32 vcc, s10, v6
	v_cndmask_b32_e32 v4, v5, v4, vcc
	v_lshrrev_b32_e32 v5, 16, v11
	v_lshrrev_b32_e32 v6, 16, v9
	v_and_or_b32 v4, v5, s11, v4
	v_mul_f16_sdwa v5, v132, v6 dst_sel:DWORD dst_unused:UNUSED_PAD src0_sel:WORD_1 src1_sel:DWORD
	v_fma_f16 v5, v132, v9, v5
	v_cvt_f32_f16_e32 v5, v5
	v_and_b32_e32 v1, 0xffff, v1
	v_lshl_or_b32 v8, v4, 16, v1
	s_mul_hi_u32 s1, s8, 0xffffdae4
	v_cvt_f64_f32_e32 v[4:5], v5
	s_mul_i32 s0, s9, 0xffffdae4
	s_sub_i32 s9, s1, s8
	s_add_i32 s9, s9, s0
	v_mul_f64 v[4:5], v[4:5], s[2:3]
	s_mulk_i32 s8, 0xdae4
	v_mov_b32_e32 v10, s9
	v_add_co_u32_e32 v1, vcc, s8, v2
	v_addc_co_u32_e32 v2, vcc, v3, v10, vcc
	global_store_dword v[1:2], v8, off
	v_and_or_b32 v3, v5, s6, v4
	v_cmp_ne_u32_e32 vcc, 0, v3
	v_cndmask_b32_e64 v3, 0, 1, vcc
	v_lshrrev_b32_e32 v4, 8, v5
	v_and_or_b32 v8, v4, s7, v3
	v_bfe_u32 v4, v5, 20, 11
	v_sub_u32_e32 v10, 0x3f1, v4
	v_or_b32_e32 v3, 0x1000, v8
	v_med3_i32 v10, v10, 0, 13
	v_lshrrev_b32_e32 v11, v10, v3
	v_lshlrev_b32_e32 v10, v10, v11
	v_mul_f16_sdwa v9, v132, v9 dst_sel:DWORD dst_unused:UNUSED_PAD src0_sel:WORD_1 src1_sel:DWORD
	v_cmp_ne_u32_e32 vcc, v10, v3
	v_fma_f16 v6, v132, v6, -v9
	v_cndmask_b32_e64 v3, 0, 1, vcc
	v_add_u32_e32 v10, 0xfffffc10, v4
	v_cvt_f32_f16_e32 v6, v6
	v_or_b32_e32 v3, v11, v3
	v_lshl_or_b32 v4, v10, 12, v8
	v_cmp_gt_i32_e32 vcc, 1, v10
	v_cndmask_b32_e32 v3, v4, v3, vcc
	v_and_b32_e32 v4, 7, v3
	v_cmp_lt_i32_e32 vcc, 5, v4
	v_cmp_eq_u32_e64 s[0:1], 3, v4
	v_lshrrev_b32_e32 v9, 2, v3
	v_cvt_f64_f32_e32 v[3:4], v6
	s_or_b64 vcc, s[0:1], vcc
	v_addc_co_u32_e32 v6, vcc, 0, v9, vcc
	v_mul_f64 v[3:4], v[3:4], s[2:3]
	v_cmp_gt_i32_e32 vcc, 31, v10
	v_cndmask_b32_e32 v6, v0, v6, vcc
	v_cmp_ne_u32_e32 vcc, 0, v8
	v_cndmask_b32_e64 v8, 0, 1, vcc
	v_lshl_or_b32 v8, v8, 9, v0
	v_cmp_eq_u32_e32 vcc, s10, v10
	v_cndmask_b32_e32 v6, v6, v8, vcc
	v_and_or_b32 v3, v4, s6, v3
	v_lshrrev_b32_e32 v5, 16, v5
	v_cmp_ne_u32_e32 vcc, 0, v3
	v_and_or_b32 v8, v5, s11, v6
	v_cndmask_b32_e64 v3, 0, 1, vcc
	v_lshrrev_b32_e32 v5, 8, v4
	v_bfe_u32 v6, v4, 20, 11
	v_and_or_b32 v3, v5, s7, v3
	v_sub_u32_e32 v9, 0x3f1, v6
	v_or_b32_e32 v5, 0x1000, v3
	v_med3_i32 v9, v9, 0, 13
	v_lshrrev_b32_e32 v10, v9, v5
	v_lshlrev_b32_e32 v9, v9, v10
	v_cmp_ne_u32_e32 vcc, v9, v5
	v_cndmask_b32_e64 v5, 0, 1, vcc
	v_add_u32_e32 v6, 0xfffffc10, v6
	v_or_b32_e32 v5, v10, v5
	v_lshl_or_b32 v9, v6, 12, v3
	v_cmp_gt_i32_e32 vcc, 1, v6
	v_cndmask_b32_e32 v5, v9, v5, vcc
	v_and_b32_e32 v9, 7, v5
	v_cmp_lt_i32_e32 vcc, 5, v9
	v_cmp_eq_u32_e64 s[0:1], 3, v9
	v_lshrrev_b32_e32 v9, 16, v7
	v_lshrrev_b32_e32 v5, 2, v5
	s_or_b64 vcc, s[0:1], vcc
	v_mul_f16_sdwa v10, v135, v9 dst_sel:DWORD dst_unused:UNUSED_PAD src0_sel:WORD_1 src1_sel:DWORD
	v_addc_co_u32_e32 v5, vcc, 0, v5, vcc
	v_fma_f16 v10, v135, v7, v10
	v_cmp_gt_i32_e32 vcc, 31, v6
	v_cvt_f32_f16_e32 v10, v10
	v_cndmask_b32_e32 v5, v0, v5, vcc
	v_cmp_ne_u32_e32 vcc, 0, v3
	v_cndmask_b32_e64 v3, 0, 1, vcc
	v_lshl_or_b32 v3, v3, 9, v0
	v_cmp_eq_u32_e32 vcc, s10, v6
	v_cndmask_b32_e32 v3, v5, v3, vcc
	v_cvt_f64_f32_e32 v[5:6], v10
	v_lshrrev_b32_e32 v4, 16, v4
	v_and_or_b32 v10, v4, s11, v3
	v_add_co_u32_e32 v1, vcc, s5, v1
	v_mul_f64 v[3:4], v[5:6], s[2:3]
	v_mov_b32_e32 v6, s4
	v_and_b32_e32 v8, 0xffff, v8
	v_addc_co_u32_e32 v2, vcc, v2, v6, vcc
	v_lshl_or_b32 v5, v10, 16, v8
	global_store_dword v[1:2], v5, off
	v_mul_f16_sdwa v7, v135, v7 dst_sel:DWORD dst_unused:UNUSED_PAD src0_sel:WORD_1 src1_sel:DWORD
	v_and_or_b32 v3, v4, s6, v3
	v_cmp_ne_u32_e32 vcc, 0, v3
	v_cndmask_b32_e64 v3, 0, 1, vcc
	v_lshrrev_b32_e32 v5, 8, v4
	v_bfe_u32 v6, v4, 20, 11
	v_and_or_b32 v3, v5, s7, v3
	v_sub_u32_e32 v8, 0x3f1, v6
	v_or_b32_e32 v5, 0x1000, v3
	v_med3_i32 v8, v8, 0, 13
	v_lshrrev_b32_e32 v10, v8, v5
	v_lshlrev_b32_e32 v8, v8, v10
	v_cmp_ne_u32_e32 vcc, v8, v5
	v_fma_f16 v7, v135, v9, -v7
	v_cndmask_b32_e64 v5, 0, 1, vcc
	v_add_u32_e32 v8, 0xfffffc10, v6
	v_cvt_f32_f16_e32 v7, v7
	v_or_b32_e32 v5, v10, v5
	v_lshl_or_b32 v6, v8, 12, v3
	v_cmp_gt_i32_e32 vcc, 1, v8
	v_cndmask_b32_e32 v5, v6, v5, vcc
	v_and_b32_e32 v6, 7, v5
	v_cmp_lt_i32_e32 vcc, 5, v6
	v_cmp_eq_u32_e64 s[0:1], 3, v6
	v_lshrrev_b32_e32 v9, 2, v5
	v_cvt_f64_f32_e32 v[5:6], v7
	s_or_b64 vcc, s[0:1], vcc
	v_addc_co_u32_e32 v7, vcc, 0, v9, vcc
	v_mul_f64 v[5:6], v[5:6], s[2:3]
	v_cmp_gt_i32_e32 vcc, 31, v8
	v_cndmask_b32_e32 v7, v0, v7, vcc
	v_cmp_ne_u32_e32 vcc, 0, v3
	v_cndmask_b32_e64 v3, 0, 1, vcc
	v_lshl_or_b32 v3, v3, 9, v0
	v_cmp_eq_u32_e32 vcc, s10, v8
	v_cndmask_b32_e32 v3, v7, v3, vcc
	v_lshrrev_b32_e32 v4, 16, v4
	v_and_or_b32 v9, v4, s11, v3
	v_and_or_b32 v3, v6, s6, v5
	v_cmp_ne_u32_e32 vcc, 0, v3
	v_cndmask_b32_e64 v3, 0, 1, vcc
	v_lshrrev_b32_e32 v4, 8, v6
	v_and_or_b32 v5, v4, s7, v3
	v_bfe_u32 v4, v6, 20, 11
	v_sub_u32_e32 v7, 0x3f1, v4
	v_or_b32_e32 v3, 0x1000, v5
	v_med3_i32 v7, v7, 0, 13
	v_lshrrev_b32_e32 v8, v7, v3
	v_lshlrev_b32_e32 v7, v7, v8
	v_cmp_ne_u32_e32 vcc, v7, v3
	v_cndmask_b32_e64 v3, 0, 1, vcc
	v_add_u32_e32 v7, 0xfffffc10, v4
	v_or_b32_e32 v3, v8, v3
	v_lshl_or_b32 v4, v7, 12, v5
	v_cmp_gt_i32_e32 vcc, 1, v7
	v_cndmask_b32_e32 v3, v4, v3, vcc
	v_and_b32_e32 v4, 7, v3
	v_cmp_lt_i32_e32 vcc, 5, v4
	v_cmp_eq_u32_e64 s[0:1], 3, v4
	v_lshrrev_b32_e32 v3, 2, v3
	s_or_b64 vcc, s[0:1], vcc
	v_addc_co_u32_e32 v8, vcc, 0, v3, vcc
	ds_read2_b32 v[3:4], v138 offset0:122 offset1:247
	v_cmp_gt_i32_e32 vcc, 31, v7
	v_cndmask_b32_e32 v8, v0, v8, vcc
	v_cmp_ne_u32_e32 vcc, 0, v5
	v_cndmask_b32_e64 v5, 0, 1, vcc
	s_waitcnt lgkmcnt(0)
	v_lshrrev_b32_e32 v10, 16, v3
	v_mul_f16_sdwa v11, v129, v10 dst_sel:DWORD dst_unused:UNUSED_PAD src0_sel:WORD_1 src1_sel:DWORD
	v_fma_f16 v11, v129, v3, v11
	v_cvt_f32_f16_e32 v11, v11
	v_lshl_or_b32 v5, v5, 9, v0
	v_cmp_eq_u32_e32 vcc, s10, v7
	v_cndmask_b32_e32 v5, v8, v5, vcc
	v_cvt_f64_f32_e32 v[7:8], v11
	v_lshrrev_b32_e32 v6, 16, v6
	v_and_or_b32 v11, v6, s11, v5
	v_add_co_u32_e32 v1, vcc, s5, v1
	v_mul_f64 v[5:6], v[7:8], s[2:3]
	v_mov_b32_e32 v8, s4
	v_and_b32_e32 v9, 0xffff, v9
	v_addc_co_u32_e32 v2, vcc, v2, v8, vcc
	v_lshl_or_b32 v7, v11, 16, v9
	global_store_dword v[1:2], v7, off
	v_mul_f16_sdwa v3, v129, v3 dst_sel:DWORD dst_unused:UNUSED_PAD src0_sel:WORD_1 src1_sel:DWORD
	v_and_or_b32 v5, v6, s6, v5
	v_cmp_ne_u32_e32 vcc, 0, v5
	v_cndmask_b32_e64 v5, 0, 1, vcc
	v_lshrrev_b32_e32 v7, 8, v6
	v_bfe_u32 v8, v6, 20, 11
	v_and_or_b32 v5, v7, s7, v5
	v_sub_u32_e32 v9, 0x3f1, v8
	v_or_b32_e32 v7, 0x1000, v5
	v_med3_i32 v9, v9, 0, 13
	v_lshrrev_b32_e32 v11, v9, v7
	v_lshlrev_b32_e32 v9, v9, v11
	v_cmp_ne_u32_e32 vcc, v9, v7
	v_fma_f16 v3, v129, v10, -v3
	v_cndmask_b32_e64 v7, 0, 1, vcc
	v_add_u32_e32 v9, 0xfffffc10, v8
	v_cvt_f32_f16_e32 v3, v3
	v_or_b32_e32 v7, v11, v7
	v_lshl_or_b32 v8, v9, 12, v5
	v_cmp_gt_i32_e32 vcc, 1, v9
	v_cndmask_b32_e32 v7, v8, v7, vcc
	v_and_b32_e32 v8, 7, v7
	v_cmp_lt_i32_e32 vcc, 5, v8
	v_cmp_eq_u32_e64 s[0:1], 3, v8
	v_lshrrev_b32_e32 v10, 2, v7
	v_cvt_f64_f32_e32 v[7:8], v3
	s_or_b64 vcc, s[0:1], vcc
	v_addc_co_u32_e32 v3, vcc, 0, v10, vcc
	v_mul_f64 v[7:8], v[7:8], s[2:3]
	v_cmp_gt_i32_e32 vcc, 31, v9
	v_cndmask_b32_e32 v3, v0, v3, vcc
	v_cmp_ne_u32_e32 vcc, 0, v5
	v_cndmask_b32_e64 v5, 0, 1, vcc
	v_lshl_or_b32 v5, v5, 9, v0
	v_cmp_eq_u32_e32 vcc, s10, v9
	v_cndmask_b32_e32 v3, v3, v5, vcc
	v_lshrrev_b32_e32 v5, 16, v6
	v_and_or_b32 v3, v5, s11, v3
	v_and_or_b32 v5, v8, s6, v7
	v_cmp_ne_u32_e32 vcc, 0, v5
	v_cndmask_b32_e64 v5, 0, 1, vcc
	v_lshrrev_b32_e32 v6, 8, v8
	v_and_or_b32 v7, v6, s7, v5
	v_bfe_u32 v6, v8, 20, 11
	v_sub_u32_e32 v9, 0x3f1, v6
	v_or_b32_e32 v5, 0x1000, v7
	v_med3_i32 v9, v9, 0, 13
	v_lshrrev_b32_e32 v10, v9, v5
	v_lshlrev_b32_e32 v9, v9, v10
	v_cmp_ne_u32_e32 vcc, v9, v5
	v_cndmask_b32_e64 v5, 0, 1, vcc
	v_add_u32_e32 v9, 0xfffffc10, v6
	v_or_b32_e32 v5, v10, v5
	v_lshl_or_b32 v6, v9, 12, v7
	v_cmp_gt_i32_e32 vcc, 1, v9
	v_cndmask_b32_e32 v5, v6, v5, vcc
	v_and_b32_e32 v6, 7, v5
	v_cmp_lt_i32_e32 vcc, 5, v6
	v_cmp_eq_u32_e64 s[0:1], 3, v6
	v_lshrrev_b32_e32 v5, 2, v5
	s_or_b64 vcc, s[0:1], vcc
	v_addc_co_u32_e32 v10, vcc, 0, v5, vcc
	ds_read2_b32 v[5:6], v141 offset0:92 offset1:217
	v_cmp_gt_i32_e32 vcc, 31, v9
	v_cndmask_b32_e32 v10, v0, v10, vcc
	v_cmp_ne_u32_e32 vcc, 0, v7
	v_cndmask_b32_e64 v7, 0, 1, vcc
	s_waitcnt lgkmcnt(0)
	v_lshrrev_b32_e32 v11, 16, v5
	v_mul_f16_sdwa v12, v130, v11 dst_sel:DWORD dst_unused:UNUSED_PAD src0_sel:WORD_1 src1_sel:DWORD
	v_fma_f16 v12, v130, v5, v12
	v_cvt_f32_f16_e32 v12, v12
	v_lshl_or_b32 v7, v7, 9, v0
	v_cmp_eq_u32_e32 vcc, s10, v9
	v_cndmask_b32_e32 v7, v10, v7, vcc
	v_cvt_f64_f32_e32 v[9:10], v12
	v_lshrrev_b32_e32 v8, 16, v8
	v_and_or_b32 v12, v8, s11, v7
	v_and_b32_e32 v3, 0xffff, v3
	v_mul_f64 v[7:8], v[9:10], s[2:3]
	v_mov_b32_e32 v9, s9
	v_add_co_u32_e32 v1, vcc, s8, v1
	v_lshl_or_b32 v3, v12, 16, v3
	v_addc_co_u32_e32 v2, vcc, v2, v9, vcc
	global_store_dword v[1:2], v3, off
	v_and_or_b32 v3, v8, s6, v7
	v_cmp_ne_u32_e32 vcc, 0, v3
	v_cndmask_b32_e64 v3, 0, 1, vcc
	v_lshrrev_b32_e32 v7, 8, v8
	v_bfe_u32 v9, v8, 20, 11
	v_and_or_b32 v3, v7, s7, v3
	v_sub_u32_e32 v10, 0x3f1, v9
	v_or_b32_e32 v7, 0x1000, v3
	v_med3_i32 v10, v10, 0, 13
	v_lshrrev_b32_e32 v12, v10, v7
	v_lshlrev_b32_e32 v10, v10, v12
	v_cmp_ne_u32_e32 vcc, v10, v7
	v_mul_f16_sdwa v5, v130, v5 dst_sel:DWORD dst_unused:UNUSED_PAD src0_sel:WORD_1 src1_sel:DWORD
	v_cndmask_b32_e64 v7, 0, 1, vcc
	v_fma_f16 v5, v130, v11, -v5
	v_or_b32_e32 v7, v12, v7
	v_add_u32_e32 v12, 0xfffffc10, v9
	v_cvt_f32_f16_e32 v5, v5
	v_lshl_or_b32 v9, v12, 12, v3
	v_cmp_gt_i32_e32 vcc, 1, v12
	v_cndmask_b32_e32 v7, v9, v7, vcc
	v_and_b32_e32 v9, 7, v7
	v_cmp_lt_i32_e32 vcc, 5, v9
	v_cmp_eq_u32_e64 s[0:1], 3, v9
	v_cvt_f64_f32_e32 v[9:10], v5
	v_lshrrev_b32_e32 v7, 2, v7
	s_or_b64 vcc, s[0:1], vcc
	v_addc_co_u32_e32 v5, vcc, 0, v7, vcc
	v_mul_f64 v[9:10], v[9:10], s[2:3]
	v_cmp_gt_i32_e32 vcc, 31, v12
	v_cndmask_b32_e32 v5, v0, v5, vcc
	v_cmp_ne_u32_e32 vcc, 0, v3
	v_cndmask_b32_e64 v3, 0, 1, vcc
	v_lshl_or_b32 v3, v3, 9, v0
	v_cmp_eq_u32_e32 vcc, s10, v12
	v_cndmask_b32_e32 v3, v5, v3, vcc
	v_lshrrev_b32_e32 v5, 16, v8
	v_and_or_b32 v3, v5, s11, v3
	v_and_or_b32 v5, v10, s6, v9
	v_cmp_ne_u32_e32 vcc, 0, v5
	v_cndmask_b32_e64 v5, 0, 1, vcc
	v_lshrrev_b32_e32 v7, 8, v10
	v_bfe_u32 v8, v10, 20, 11
	v_and_or_b32 v5, v7, s7, v5
	v_sub_u32_e32 v9, 0x3f1, v8
	v_or_b32_e32 v7, 0x1000, v5
	v_med3_i32 v9, v9, 0, 13
	v_lshrrev_b32_e32 v11, v9, v7
	v_lshlrev_b32_e32 v9, v9, v11
	v_cmp_ne_u32_e32 vcc, v9, v7
	v_cndmask_b32_e64 v7, 0, 1, vcc
	v_add_u32_e32 v9, 0xfffffc10, v8
	v_or_b32_e32 v7, v11, v7
	v_lshl_or_b32 v8, v9, 12, v5
	v_cmp_gt_i32_e32 vcc, 1, v9
	v_cndmask_b32_e32 v7, v8, v7, vcc
	v_and_b32_e32 v8, 7, v7
	v_cmp_lt_i32_e32 vcc, 5, v8
	v_cmp_eq_u32_e64 s[0:1], 3, v8
	v_lshrrev_b32_e32 v7, 2, v7
	s_or_b64 vcc, s[0:1], vcc
	v_addc_co_u32_e32 v11, vcc, 0, v7, vcc
	ds_read2_b32 v[7:8], v139 offset0:62 offset1:187
	v_cmp_gt_i32_e32 vcc, 31, v9
	v_cndmask_b32_e32 v11, v0, v11, vcc
	v_cmp_ne_u32_e32 vcc, 0, v5
	v_cndmask_b32_e64 v5, 0, 1, vcc
	s_waitcnt lgkmcnt(0)
	v_lshrrev_b32_e32 v13, 16, v7
	v_mul_f16_sdwa v12, v131, v13 dst_sel:DWORD dst_unused:UNUSED_PAD src0_sel:WORD_1 src1_sel:DWORD
	v_fma_f16 v12, v131, v7, v12
	v_cvt_f32_f16_e32 v12, v12
	v_lshl_or_b32 v5, v5, 9, v0
	v_cmp_eq_u32_e32 vcc, s10, v9
	v_cndmask_b32_e32 v5, v11, v5, vcc
	v_cvt_f64_f32_e32 v[11:12], v12
	v_lshrrev_b32_e32 v9, 16, v10
	v_and_or_b32 v5, v9, s11, v5
	v_and_b32_e32 v3, 0xffff, v3
	v_mul_f64 v[9:10], v[11:12], s[2:3]
	v_lshl_or_b32 v3, v5, 16, v3
	v_mov_b32_e32 v5, s4
	v_add_co_u32_e32 v1, vcc, s5, v1
	v_addc_co_u32_e32 v2, vcc, v2, v5, vcc
	global_store_dword v[1:2], v3, off
	v_and_or_b32 v3, v10, s6, v9
	v_cmp_ne_u32_e32 vcc, 0, v3
	v_cndmask_b32_e64 v3, 0, 1, vcc
	v_lshrrev_b32_e32 v5, 8, v10
	v_bfe_u32 v9, v10, 20, 11
	v_and_or_b32 v3, v5, s7, v3
	v_sub_u32_e32 v11, 0x3f1, v9
	v_or_b32_e32 v5, 0x1000, v3
	v_med3_i32 v11, v11, 0, 13
	v_lshrrev_b32_e32 v12, v11, v5
	v_lshlrev_b32_e32 v11, v11, v12
	v_mul_f16_sdwa v7, v131, v7 dst_sel:DWORD dst_unused:UNUSED_PAD src0_sel:WORD_1 src1_sel:DWORD
	v_cmp_ne_u32_e32 vcc, v11, v5
	v_fma_f16 v7, v131, v13, -v7
	v_cndmask_b32_e64 v5, 0, 1, vcc
	v_add_u32_e32 v9, 0xfffffc10, v9
	v_cvt_f32_f16_e32 v7, v7
	v_or_b32_e32 v5, v12, v5
	v_lshl_or_b32 v11, v9, 12, v3
	v_cmp_gt_i32_e32 vcc, 1, v9
	v_cndmask_b32_e32 v5, v11, v5, vcc
	v_and_b32_e32 v11, 7, v5
	v_cmp_lt_i32_e32 vcc, 5, v11
	v_cmp_eq_u32_e64 s[0:1], 3, v11
	v_cvt_f64_f32_e32 v[11:12], v7
	v_lshrrev_b32_e32 v5, 2, v5
	s_or_b64 vcc, s[0:1], vcc
	v_addc_co_u32_e32 v5, vcc, 0, v5, vcc
	v_mul_f64 v[11:12], v[11:12], s[2:3]
	v_cmp_gt_i32_e32 vcc, 31, v9
	v_cndmask_b32_e32 v5, v0, v5, vcc
	v_cmp_ne_u32_e32 vcc, 0, v3
	v_cndmask_b32_e64 v3, 0, 1, vcc
	v_lshl_or_b32 v3, v3, 9, v0
	v_cmp_eq_u32_e32 vcc, s10, v9
	v_cndmask_b32_e32 v3, v5, v3, vcc
	v_lshrrev_b32_e32 v5, 16, v10
	v_and_or_b32 v3, v5, s11, v3
	v_and_or_b32 v5, v12, s6, v11
	v_cmp_ne_u32_e32 vcc, 0, v5
	v_cndmask_b32_e64 v5, 0, 1, vcc
	v_lshrrev_b32_e32 v7, 8, v12
	v_bfe_u32 v9, v12, 20, 11
	v_and_or_b32 v5, v7, s7, v5
	v_sub_u32_e32 v10, 0x3f1, v9
	v_or_b32_e32 v7, 0x1000, v5
	v_med3_i32 v10, v10, 0, 13
	v_lshrrev_b32_e32 v11, v10, v7
	v_lshlrev_b32_e32 v10, v10, v11
	v_cmp_ne_u32_e32 vcc, v10, v7
	v_cndmask_b32_e64 v7, 0, 1, vcc
	v_add_u32_e32 v9, 0xfffffc10, v9
	v_or_b32_e32 v7, v11, v7
	v_lshl_or_b32 v10, v9, 12, v5
	v_cmp_gt_i32_e32 vcc, 1, v9
	v_cndmask_b32_e32 v7, v10, v7, vcc
	v_and_b32_e32 v10, 7, v7
	v_lshrrev_b32_e32 v11, 16, v4
	v_cmp_lt_i32_e32 vcc, 5, v10
	v_cmp_eq_u32_e64 s[0:1], 3, v10
	v_mul_f16_sdwa v10, v123, v11 dst_sel:DWORD dst_unused:UNUSED_PAD src0_sel:WORD_1 src1_sel:DWORD
	v_fma_f16 v10, v123, v4, v10
	v_lshrrev_b32_e32 v7, 2, v7
	s_or_b64 vcc, s[0:1], vcc
	v_cvt_f32_f16_e32 v10, v10
	v_addc_co_u32_e32 v7, vcc, 0, v7, vcc
	v_cmp_gt_i32_e32 vcc, 31, v9
	v_cndmask_b32_e32 v7, v0, v7, vcc
	v_cmp_ne_u32_e32 vcc, 0, v5
	v_cndmask_b32_e64 v5, 0, 1, vcc
	v_cmp_eq_u32_e32 vcc, s10, v9
	v_cvt_f64_f32_e32 v[9:10], v10
	v_lshl_or_b32 v5, v5, 9, v0
	v_cndmask_b32_e32 v5, v7, v5, vcc
	v_lshrrev_b32_e32 v7, 16, v12
	v_mul_f64 v[9:10], v[9:10], s[2:3]
	v_and_or_b32 v5, v7, s11, v5
	v_and_b32_e32 v3, 0xffff, v3
	v_lshl_or_b32 v3, v5, 16, v3
	v_mov_b32_e32 v5, s4
	v_add_co_u32_e32 v1, vcc, s5, v1
	v_addc_co_u32_e32 v2, vcc, v2, v5, vcc
	global_store_dword v[1:2], v3, off
	v_and_or_b32 v3, v10, s6, v9
	v_cmp_ne_u32_e32 vcc, 0, v3
	v_cndmask_b32_e64 v3, 0, 1, vcc
	v_lshrrev_b32_e32 v5, 8, v10
	v_bfe_u32 v7, v10, 20, 11
	v_and_or_b32 v5, v5, s7, v3
	v_sub_u32_e32 v9, 0x3f1, v7
	v_or_b32_e32 v3, 0x1000, v5
	v_med3_i32 v9, v9, 0, 13
	v_lshrrev_b32_e32 v12, v9, v3
	v_lshlrev_b32_e32 v9, v9, v12
	v_mul_f16_sdwa v4, v123, v4 dst_sel:DWORD dst_unused:UNUSED_PAD src0_sel:WORD_1 src1_sel:DWORD
	v_cmp_ne_u32_e32 vcc, v9, v3
	v_fma_f16 v4, v123, v11, -v4
	v_cndmask_b32_e64 v3, 0, 1, vcc
	v_add_u32_e32 v7, 0xfffffc10, v7
	v_cvt_f32_f16_e32 v4, v4
	v_or_b32_e32 v3, v12, v3
	v_lshl_or_b32 v9, v7, 12, v5
	v_cmp_gt_i32_e32 vcc, 1, v7
	v_cndmask_b32_e32 v3, v9, v3, vcc
	v_and_b32_e32 v9, 7, v3
	v_cmp_lt_i32_e32 vcc, 5, v9
	v_cmp_eq_u32_e64 s[0:1], 3, v9
	v_lshrrev_b32_e32 v9, 2, v3
	v_cvt_f64_f32_e32 v[3:4], v4
	s_or_b64 vcc, s[0:1], vcc
	v_addc_co_u32_e32 v9, vcc, 0, v9, vcc
	v_mul_f64 v[3:4], v[3:4], s[2:3]
	v_cmp_gt_i32_e32 vcc, 31, v7
	v_cndmask_b32_e32 v9, v0, v9, vcc
	v_cmp_ne_u32_e32 vcc, 0, v5
	v_cndmask_b32_e64 v5, 0, 1, vcc
	v_lshl_or_b32 v5, v5, 9, v0
	v_cmp_eq_u32_e32 vcc, s10, v7
	v_cndmask_b32_e32 v5, v9, v5, vcc
	v_and_or_b32 v3, v4, s6, v3
	v_lshrrev_b32_e32 v7, 16, v10
	v_cmp_ne_u32_e32 vcc, 0, v3
	v_and_or_b32 v5, v7, s11, v5
	v_cndmask_b32_e64 v3, 0, 1, vcc
	v_lshrrev_b32_e32 v7, 8, v4
	v_bfe_u32 v9, v4, 20, 11
	v_and_or_b32 v3, v7, s7, v3
	v_sub_u32_e32 v10, 0x3f1, v9
	v_or_b32_e32 v7, 0x1000, v3
	v_med3_i32 v10, v10, 0, 13
	v_lshrrev_b32_e32 v11, v10, v7
	v_lshlrev_b32_e32 v10, v10, v11
	v_cmp_ne_u32_e32 vcc, v10, v7
	v_cndmask_b32_e64 v7, 0, 1, vcc
	v_add_u32_e32 v9, 0xfffffc10, v9
	v_or_b32_e32 v7, v11, v7
	v_lshl_or_b32 v10, v9, 12, v3
	v_cmp_gt_i32_e32 vcc, 1, v9
	v_cndmask_b32_e32 v7, v10, v7, vcc
	v_and_b32_e32 v10, 7, v7
	v_lshrrev_b32_e32 v11, 16, v6
	v_cmp_lt_i32_e32 vcc, 5, v10
	v_cmp_eq_u32_e64 s[0:1], 3, v10
	v_mul_f16_sdwa v10, v124, v11 dst_sel:DWORD dst_unused:UNUSED_PAD src0_sel:WORD_1 src1_sel:DWORD
	v_fma_f16 v10, v124, v6, v10
	v_lshrrev_b32_e32 v7, 2, v7
	s_or_b64 vcc, s[0:1], vcc
	v_cvt_f32_f16_e32 v10, v10
	v_addc_co_u32_e32 v7, vcc, 0, v7, vcc
	v_cmp_gt_i32_e32 vcc, 31, v9
	v_cndmask_b32_e32 v7, v0, v7, vcc
	v_cmp_ne_u32_e32 vcc, 0, v3
	v_cndmask_b32_e64 v3, 0, 1, vcc
	v_cmp_eq_u32_e32 vcc, s10, v9
	v_cvt_f64_f32_e32 v[9:10], v10
	v_lshl_or_b32 v3, v3, 9, v0
	v_cndmask_b32_e32 v3, v7, v3, vcc
	v_lshrrev_b32_e32 v4, 16, v4
	v_and_or_b32 v7, v4, s11, v3
	v_mul_f64 v[3:4], v[9:10], s[2:3]
	v_and_b32_e32 v5, 0xffff, v5
	v_lshl_or_b32 v5, v7, 16, v5
	v_mov_b32_e32 v7, s9
	v_add_co_u32_e32 v1, vcc, s8, v1
	v_addc_co_u32_e32 v2, vcc, v2, v7, vcc
	v_and_or_b32 v3, v4, s6, v3
	v_cmp_ne_u32_e32 vcc, 0, v3
	global_store_dword v[1:2], v5, off
	v_cndmask_b32_e64 v3, 0, 1, vcc
	v_lshrrev_b32_e32 v5, 8, v4
	v_bfe_u32 v7, v4, 20, 11
	v_and_or_b32 v3, v5, s7, v3
	v_sub_u32_e32 v9, 0x3f1, v7
	v_or_b32_e32 v5, 0x1000, v3
	v_med3_i32 v9, v9, 0, 13
	v_lshrrev_b32_e32 v10, v9, v5
	v_lshlrev_b32_e32 v9, v9, v10
	v_mul_f16_sdwa v6, v124, v6 dst_sel:DWORD dst_unused:UNUSED_PAD src0_sel:WORD_1 src1_sel:DWORD
	v_cmp_ne_u32_e32 vcc, v9, v5
	v_fma_f16 v6, v124, v11, -v6
	v_cndmask_b32_e64 v5, 0, 1, vcc
	v_add_u32_e32 v7, 0xfffffc10, v7
	v_cvt_f32_f16_e32 v6, v6
	v_or_b32_e32 v5, v10, v5
	v_lshl_or_b32 v9, v7, 12, v3
	v_cmp_gt_i32_e32 vcc, 1, v7
	v_cndmask_b32_e32 v5, v9, v5, vcc
	v_and_b32_e32 v9, 7, v5
	v_cmp_lt_i32_e32 vcc, 5, v9
	v_cmp_eq_u32_e64 s[0:1], 3, v9
	v_lshrrev_b32_e32 v9, 2, v5
	v_cvt_f64_f32_e32 v[5:6], v6
	s_or_b64 vcc, s[0:1], vcc
	v_addc_co_u32_e32 v9, vcc, 0, v9, vcc
	v_mul_f64 v[5:6], v[5:6], s[2:3]
	v_cmp_gt_i32_e32 vcc, 31, v7
	v_cndmask_b32_e32 v9, v0, v9, vcc
	v_cmp_ne_u32_e32 vcc, 0, v3
	v_cndmask_b32_e64 v3, 0, 1, vcc
	v_lshl_or_b32 v3, v3, 9, v0
	v_cmp_eq_u32_e32 vcc, s10, v7
	v_cndmask_b32_e32 v3, v9, v3, vcc
	v_lshrrev_b32_e32 v4, 16, v4
	v_and_or_b32 v7, v4, s11, v3
	v_and_or_b32 v3, v6, s6, v5
	v_cmp_ne_u32_e32 vcc, 0, v3
	v_cndmask_b32_e64 v3, 0, 1, vcc
	v_lshrrev_b32_e32 v4, 8, v6
	v_bfe_u32 v5, v6, 20, 11
	v_and_or_b32 v3, v4, s7, v3
	v_sub_u32_e32 v9, 0x3f1, v5
	v_or_b32_e32 v4, 0x1000, v3
	v_med3_i32 v9, v9, 0, 13
	v_lshrrev_b32_e32 v10, v9, v4
	v_lshlrev_b32_e32 v9, v9, v10
	v_cmp_ne_u32_e32 vcc, v9, v4
	v_cndmask_b32_e64 v4, 0, 1, vcc
	v_add_u32_e32 v5, 0xfffffc10, v5
	v_or_b32_e32 v4, v10, v4
	v_lshl_or_b32 v9, v5, 12, v3
	v_cmp_gt_i32_e32 vcc, 1, v5
	v_cndmask_b32_e32 v4, v9, v4, vcc
	v_and_b32_e32 v9, 7, v4
	v_cmp_lt_i32_e32 vcc, 5, v9
	v_cmp_eq_u32_e64 s[0:1], 3, v9
	v_lshrrev_b32_e32 v9, 16, v8
	v_lshrrev_b32_e32 v4, 2, v4
	s_or_b64 vcc, s[0:1], vcc
	v_mul_f16_sdwa v10, v125, v9 dst_sel:DWORD dst_unused:UNUSED_PAD src0_sel:WORD_1 src1_sel:DWORD
	v_addc_co_u32_e32 v4, vcc, 0, v4, vcc
	v_fma_f16 v10, v125, v8, v10
	v_cmp_gt_i32_e32 vcc, 31, v5
	v_cvt_f32_f16_e32 v10, v10
	v_cndmask_b32_e32 v4, v0, v4, vcc
	v_cmp_ne_u32_e32 vcc, 0, v3
	v_cndmask_b32_e64 v3, 0, 1, vcc
	v_lshl_or_b32 v3, v3, 9, v0
	v_cmp_eq_u32_e32 vcc, s10, v5
	v_cndmask_b32_e32 v5, v4, v3, vcc
	v_cvt_f64_f32_e32 v[3:4], v10
	v_lshrrev_b32_e32 v6, 16, v6
	v_and_or_b32 v5, v6, s11, v5
	v_and_b32_e32 v6, 0xffff, v7
	v_mul_f64 v[3:4], v[3:4], s[2:3]
	v_lshl_or_b32 v5, v5, 16, v6
	v_mov_b32_e32 v6, s4
	v_add_co_u32_e32 v1, vcc, s5, v1
	v_addc_co_u32_e32 v2, vcc, v2, v6, vcc
	global_store_dword v[1:2], v5, off
	v_and_or_b32 v3, v4, s6, v3
	v_cmp_ne_u32_e32 vcc, 0, v3
	v_cndmask_b32_e64 v3, 0, 1, vcc
	v_lshrrev_b32_e32 v5, 8, v4
	v_bfe_u32 v6, v4, 20, 11
	v_and_or_b32 v3, v5, s7, v3
	v_sub_u32_e32 v7, 0x3f1, v6
	v_or_b32_e32 v5, 0x1000, v3
	v_med3_i32 v7, v7, 0, 13
	v_lshrrev_b32_e32 v10, v7, v5
	v_lshlrev_b32_e32 v7, v7, v10
	v_mul_f16_sdwa v8, v125, v8 dst_sel:DWORD dst_unused:UNUSED_PAD src0_sel:WORD_1 src1_sel:DWORD
	v_cmp_ne_u32_e32 vcc, v7, v5
	v_fma_f16 v8, v125, v9, -v8
	v_cndmask_b32_e64 v5, 0, 1, vcc
	v_add_u32_e32 v7, 0xfffffc10, v6
	v_cvt_f32_f16_e32 v8, v8
	v_or_b32_e32 v5, v10, v5
	v_lshl_or_b32 v6, v7, 12, v3
	v_cmp_gt_i32_e32 vcc, 1, v7
	v_cndmask_b32_e32 v5, v6, v5, vcc
	v_and_b32_e32 v6, 7, v5
	v_cmp_lt_i32_e32 vcc, 5, v6
	v_cmp_eq_u32_e64 s[0:1], 3, v6
	v_lshrrev_b32_e32 v9, 2, v5
	v_cvt_f64_f32_e32 v[5:6], v8
	s_or_b64 vcc, s[0:1], vcc
	v_addc_co_u32_e32 v8, vcc, 0, v9, vcc
	v_mul_f64 v[5:6], v[5:6], s[2:3]
	v_cmp_gt_i32_e32 vcc, 31, v7
	v_cndmask_b32_e32 v8, v0, v8, vcc
	v_cmp_ne_u32_e32 vcc, 0, v3
	v_cndmask_b32_e64 v3, 0, 1, vcc
	v_lshl_or_b32 v3, v3, 9, v0
	v_cmp_eq_u32_e32 vcc, s10, v7
	v_cndmask_b32_e32 v3, v8, v3, vcc
	v_lshrrev_b32_e32 v4, 16, v4
	v_and_or_b32 v9, v4, s11, v3
	v_and_or_b32 v3, v6, s6, v5
	v_cmp_ne_u32_e32 vcc, 0, v3
	v_cndmask_b32_e64 v3, 0, 1, vcc
	v_lshrrev_b32_e32 v4, 8, v6
	v_and_or_b32 v5, v4, s7, v3
	v_bfe_u32 v4, v6, 20, 11
	v_sub_u32_e32 v7, 0x3f1, v4
	v_or_b32_e32 v3, 0x1000, v5
	v_med3_i32 v7, v7, 0, 13
	v_lshrrev_b32_e32 v8, v7, v3
	v_lshlrev_b32_e32 v7, v7, v8
	v_cmp_ne_u32_e32 vcc, v7, v3
	v_cndmask_b32_e64 v3, 0, 1, vcc
	v_add_u32_e32 v7, 0xfffffc10, v4
	v_or_b32_e32 v3, v8, v3
	v_lshl_or_b32 v4, v7, 12, v5
	v_cmp_gt_i32_e32 vcc, 1, v7
	v_cndmask_b32_e32 v3, v4, v3, vcc
	v_and_b32_e32 v4, 7, v3
	v_cmp_lt_i32_e32 vcc, 5, v4
	v_cmp_eq_u32_e64 s[0:1], 3, v4
	v_lshrrev_b32_e32 v3, 2, v3
	s_or_b64 vcc, s[0:1], vcc
	v_addc_co_u32_e32 v8, vcc, 0, v3, vcc
	ds_read2_b32 v[3:4], v127 offset0:116 offset1:241
	v_cmp_gt_i32_e32 vcc, 31, v7
	v_cndmask_b32_e32 v8, v0, v8, vcc
	v_cmp_ne_u32_e32 vcc, 0, v5
	v_cndmask_b32_e64 v5, 0, 1, vcc
	s_waitcnt lgkmcnt(0)
	v_lshrrev_b32_e32 v10, 16, v3
	v_mul_f16_sdwa v11, v120, v10 dst_sel:DWORD dst_unused:UNUSED_PAD src0_sel:WORD_1 src1_sel:DWORD
	v_fma_f16 v11, v120, v3, v11
	v_cvt_f32_f16_e32 v11, v11
	v_lshl_or_b32 v5, v5, 9, v0
	v_cmp_eq_u32_e32 vcc, s10, v7
	v_cndmask_b32_e32 v5, v8, v5, vcc
	v_cvt_f64_f32_e32 v[7:8], v11
	v_lshrrev_b32_e32 v6, 16, v6
	v_and_or_b32 v11, v6, s11, v5
	v_add_co_u32_e32 v1, vcc, s5, v1
	v_mul_f64 v[5:6], v[7:8], s[2:3]
	v_mov_b32_e32 v8, s4
	v_and_b32_e32 v9, 0xffff, v9
	v_addc_co_u32_e32 v2, vcc, v2, v8, vcc
	v_lshl_or_b32 v7, v11, 16, v9
	global_store_dword v[1:2], v7, off
	v_mul_f16_sdwa v3, v120, v3 dst_sel:DWORD dst_unused:UNUSED_PAD src0_sel:WORD_1 src1_sel:DWORD
	v_and_or_b32 v5, v6, s6, v5
	v_cmp_ne_u32_e32 vcc, 0, v5
	v_cndmask_b32_e64 v5, 0, 1, vcc
	v_lshrrev_b32_e32 v7, 8, v6
	v_bfe_u32 v8, v6, 20, 11
	v_and_or_b32 v5, v7, s7, v5
	v_sub_u32_e32 v9, 0x3f1, v8
	v_or_b32_e32 v7, 0x1000, v5
	v_med3_i32 v9, v9, 0, 13
	v_lshrrev_b32_e32 v11, v9, v7
	v_lshlrev_b32_e32 v9, v9, v11
	v_cmp_ne_u32_e32 vcc, v9, v7
	v_fma_f16 v3, v120, v10, -v3
	v_cndmask_b32_e64 v7, 0, 1, vcc
	v_add_u32_e32 v9, 0xfffffc10, v8
	v_cvt_f32_f16_e32 v3, v3
	v_or_b32_e32 v7, v11, v7
	v_lshl_or_b32 v8, v9, 12, v5
	v_cmp_gt_i32_e32 vcc, 1, v9
	v_cndmask_b32_e32 v7, v8, v7, vcc
	v_and_b32_e32 v8, 7, v7
	v_cmp_lt_i32_e32 vcc, 5, v8
	v_cmp_eq_u32_e64 s[0:1], 3, v8
	v_lshrrev_b32_e32 v10, 2, v7
	v_cvt_f64_f32_e32 v[7:8], v3
	s_or_b64 vcc, s[0:1], vcc
	v_addc_co_u32_e32 v3, vcc, 0, v10, vcc
	v_mul_f64 v[7:8], v[7:8], s[2:3]
	v_cmp_gt_i32_e32 vcc, 31, v9
	v_cndmask_b32_e32 v3, v0, v3, vcc
	v_cmp_ne_u32_e32 vcc, 0, v5
	v_cndmask_b32_e64 v5, 0, 1, vcc
	v_lshl_or_b32 v5, v5, 9, v0
	v_cmp_eq_u32_e32 vcc, s10, v9
	v_cndmask_b32_e32 v3, v3, v5, vcc
	v_lshrrev_b32_e32 v5, 16, v6
	v_and_or_b32 v3, v5, s11, v3
	v_and_or_b32 v5, v8, s6, v7
	v_cmp_ne_u32_e32 vcc, 0, v5
	v_cndmask_b32_e64 v5, 0, 1, vcc
	v_lshrrev_b32_e32 v6, 8, v8
	v_and_or_b32 v7, v6, s7, v5
	v_bfe_u32 v6, v8, 20, 11
	v_sub_u32_e32 v9, 0x3f1, v6
	v_or_b32_e32 v5, 0x1000, v7
	v_med3_i32 v9, v9, 0, 13
	v_lshrrev_b32_e32 v10, v9, v5
	v_lshlrev_b32_e32 v9, v9, v10
	v_cmp_ne_u32_e32 vcc, v9, v5
	v_cndmask_b32_e64 v5, 0, 1, vcc
	v_add_u32_e32 v9, 0xfffffc10, v6
	v_or_b32_e32 v5, v10, v5
	v_lshl_or_b32 v6, v9, 12, v7
	v_cmp_gt_i32_e32 vcc, 1, v9
	v_cndmask_b32_e32 v5, v6, v5, vcc
	v_and_b32_e32 v6, 7, v5
	v_cmp_lt_i32_e32 vcc, 5, v6
	v_cmp_eq_u32_e64 s[0:1], 3, v6
	v_lshrrev_b32_e32 v5, 2, v5
	s_or_b64 vcc, s[0:1], vcc
	v_addc_co_u32_e32 v10, vcc, 0, v5, vcc
	ds_read2_b32 v[5:6], v128 offset0:86 offset1:211
	v_cmp_gt_i32_e32 vcc, 31, v9
	v_cndmask_b32_e32 v10, v0, v10, vcc
	v_cmp_ne_u32_e32 vcc, 0, v7
	v_cndmask_b32_e64 v7, 0, 1, vcc
	s_waitcnt lgkmcnt(0)
	v_lshrrev_b32_e32 v11, 16, v5
	v_mul_f16_sdwa v12, v121, v11 dst_sel:DWORD dst_unused:UNUSED_PAD src0_sel:WORD_1 src1_sel:DWORD
	v_fma_f16 v12, v121, v5, v12
	v_cvt_f32_f16_e32 v12, v12
	v_lshl_or_b32 v7, v7, 9, v0
	v_cmp_eq_u32_e32 vcc, s10, v9
	v_cndmask_b32_e32 v7, v10, v7, vcc
	v_cvt_f64_f32_e32 v[9:10], v12
	v_lshrrev_b32_e32 v8, 16, v8
	v_and_or_b32 v12, v8, s11, v7
	v_and_b32_e32 v3, 0xffff, v3
	v_mul_f64 v[7:8], v[9:10], s[2:3]
	v_mov_b32_e32 v9, s9
	v_add_co_u32_e32 v1, vcc, s8, v1
	v_lshl_or_b32 v3, v12, 16, v3
	v_addc_co_u32_e32 v2, vcc, v2, v9, vcc
	global_store_dword v[1:2], v3, off
	v_and_or_b32 v3, v8, s6, v7
	v_cmp_ne_u32_e32 vcc, 0, v3
	v_cndmask_b32_e64 v3, 0, 1, vcc
	v_lshrrev_b32_e32 v7, 8, v8
	v_bfe_u32 v9, v8, 20, 11
	v_and_or_b32 v3, v7, s7, v3
	v_sub_u32_e32 v10, 0x3f1, v9
	v_or_b32_e32 v7, 0x1000, v3
	v_med3_i32 v10, v10, 0, 13
	v_lshrrev_b32_e32 v12, v10, v7
	v_lshlrev_b32_e32 v10, v10, v12
	v_cmp_ne_u32_e32 vcc, v10, v7
	v_mul_f16_sdwa v5, v121, v5 dst_sel:DWORD dst_unused:UNUSED_PAD src0_sel:WORD_1 src1_sel:DWORD
	v_cndmask_b32_e64 v7, 0, 1, vcc
	v_fma_f16 v5, v121, v11, -v5
	v_or_b32_e32 v7, v12, v7
	v_add_u32_e32 v12, 0xfffffc10, v9
	v_cvt_f32_f16_e32 v5, v5
	v_lshl_or_b32 v9, v12, 12, v3
	v_cmp_gt_i32_e32 vcc, 1, v12
	v_cndmask_b32_e32 v7, v9, v7, vcc
	v_and_b32_e32 v9, 7, v7
	v_cmp_lt_i32_e32 vcc, 5, v9
	v_cmp_eq_u32_e64 s[0:1], 3, v9
	v_cvt_f64_f32_e32 v[9:10], v5
	v_lshrrev_b32_e32 v7, 2, v7
	s_or_b64 vcc, s[0:1], vcc
	v_addc_co_u32_e32 v5, vcc, 0, v7, vcc
	v_mul_f64 v[9:10], v[9:10], s[2:3]
	v_cmp_gt_i32_e32 vcc, 31, v12
	v_cndmask_b32_e32 v5, v0, v5, vcc
	v_cmp_ne_u32_e32 vcc, 0, v3
	v_cndmask_b32_e64 v3, 0, 1, vcc
	v_lshl_or_b32 v3, v3, 9, v0
	v_cmp_eq_u32_e32 vcc, s10, v12
	v_cndmask_b32_e32 v3, v5, v3, vcc
	v_lshrrev_b32_e32 v5, 16, v8
	v_and_or_b32 v3, v5, s11, v3
	v_and_or_b32 v5, v10, s6, v9
	v_cmp_ne_u32_e32 vcc, 0, v5
	v_cndmask_b32_e64 v5, 0, 1, vcc
	v_lshrrev_b32_e32 v7, 8, v10
	v_bfe_u32 v8, v10, 20, 11
	v_and_or_b32 v5, v7, s7, v5
	v_sub_u32_e32 v9, 0x3f1, v8
	v_or_b32_e32 v7, 0x1000, v5
	v_med3_i32 v9, v9, 0, 13
	v_lshrrev_b32_e32 v11, v9, v7
	v_lshlrev_b32_e32 v9, v9, v11
	v_cmp_ne_u32_e32 vcc, v9, v7
	v_cndmask_b32_e64 v7, 0, 1, vcc
	v_add_u32_e32 v9, 0xfffffc10, v8
	v_or_b32_e32 v7, v11, v7
	v_lshl_or_b32 v8, v9, 12, v5
	v_cmp_gt_i32_e32 vcc, 1, v9
	v_cndmask_b32_e32 v7, v8, v7, vcc
	v_and_b32_e32 v8, 7, v7
	v_cmp_lt_i32_e32 vcc, 5, v8
	v_cmp_eq_u32_e64 s[0:1], 3, v8
	v_lshrrev_b32_e32 v7, 2, v7
	s_or_b64 vcc, s[0:1], vcc
	v_addc_co_u32_e32 v11, vcc, 0, v7, vcc
	ds_read2_b32 v[7:8], v126 offset0:56 offset1:181
	v_cmp_gt_i32_e32 vcc, 31, v9
	v_cndmask_b32_e32 v11, v0, v11, vcc
	v_cmp_ne_u32_e32 vcc, 0, v5
	v_cndmask_b32_e64 v5, 0, 1, vcc
	s_waitcnt lgkmcnt(0)
	v_lshrrev_b32_e32 v13, 16, v7
	v_mul_f16_sdwa v12, v122, v13 dst_sel:DWORD dst_unused:UNUSED_PAD src0_sel:WORD_1 src1_sel:DWORD
	v_fma_f16 v12, v122, v7, v12
	v_cvt_f32_f16_e32 v12, v12
	v_lshl_or_b32 v5, v5, 9, v0
	v_cmp_eq_u32_e32 vcc, s10, v9
	v_cndmask_b32_e32 v5, v11, v5, vcc
	v_cvt_f64_f32_e32 v[11:12], v12
	v_lshrrev_b32_e32 v9, 16, v10
	v_and_or_b32 v5, v9, s11, v5
	v_and_b32_e32 v3, 0xffff, v3
	v_mul_f64 v[9:10], v[11:12], s[2:3]
	v_lshl_or_b32 v3, v5, 16, v3
	v_mov_b32_e32 v5, s4
	v_add_co_u32_e32 v1, vcc, s5, v1
	v_addc_co_u32_e32 v2, vcc, v2, v5, vcc
	global_store_dword v[1:2], v3, off
	v_and_or_b32 v3, v10, s6, v9
	v_cmp_ne_u32_e32 vcc, 0, v3
	v_cndmask_b32_e64 v3, 0, 1, vcc
	v_lshrrev_b32_e32 v5, 8, v10
	v_bfe_u32 v9, v10, 20, 11
	v_and_or_b32 v3, v5, s7, v3
	v_sub_u32_e32 v11, 0x3f1, v9
	v_or_b32_e32 v5, 0x1000, v3
	v_med3_i32 v11, v11, 0, 13
	v_lshrrev_b32_e32 v12, v11, v5
	v_lshlrev_b32_e32 v11, v11, v12
	v_mul_f16_sdwa v7, v122, v7 dst_sel:DWORD dst_unused:UNUSED_PAD src0_sel:WORD_1 src1_sel:DWORD
	v_cmp_ne_u32_e32 vcc, v11, v5
	v_fma_f16 v7, v122, v13, -v7
	v_cndmask_b32_e64 v5, 0, 1, vcc
	v_add_u32_e32 v9, 0xfffffc10, v9
	v_cvt_f32_f16_e32 v7, v7
	v_or_b32_e32 v5, v12, v5
	v_lshl_or_b32 v11, v9, 12, v3
	v_cmp_gt_i32_e32 vcc, 1, v9
	v_cndmask_b32_e32 v5, v11, v5, vcc
	v_and_b32_e32 v11, 7, v5
	v_cmp_lt_i32_e32 vcc, 5, v11
	v_cmp_eq_u32_e64 s[0:1], 3, v11
	v_cvt_f64_f32_e32 v[11:12], v7
	v_lshrrev_b32_e32 v5, 2, v5
	s_or_b64 vcc, s[0:1], vcc
	v_addc_co_u32_e32 v5, vcc, 0, v5, vcc
	v_mul_f64 v[11:12], v[11:12], s[2:3]
	v_cmp_gt_i32_e32 vcc, 31, v9
	v_cndmask_b32_e32 v5, v0, v5, vcc
	v_cmp_ne_u32_e32 vcc, 0, v3
	v_cndmask_b32_e64 v3, 0, 1, vcc
	v_lshl_or_b32 v3, v3, 9, v0
	v_cmp_eq_u32_e32 vcc, s10, v9
	v_cndmask_b32_e32 v3, v5, v3, vcc
	v_lshrrev_b32_e32 v5, 16, v10
	v_and_or_b32 v3, v5, s11, v3
	v_and_or_b32 v5, v12, s6, v11
	v_cmp_ne_u32_e32 vcc, 0, v5
	v_cndmask_b32_e64 v5, 0, 1, vcc
	v_lshrrev_b32_e32 v7, 8, v12
	v_bfe_u32 v9, v12, 20, 11
	v_and_or_b32 v5, v7, s7, v5
	v_sub_u32_e32 v10, 0x3f1, v9
	v_or_b32_e32 v7, 0x1000, v5
	v_med3_i32 v10, v10, 0, 13
	v_lshrrev_b32_e32 v11, v10, v7
	v_lshlrev_b32_e32 v10, v10, v11
	v_cmp_ne_u32_e32 vcc, v10, v7
	v_cndmask_b32_e64 v7, 0, 1, vcc
	v_add_u32_e32 v9, 0xfffffc10, v9
	v_or_b32_e32 v7, v11, v7
	v_lshl_or_b32 v10, v9, 12, v5
	v_cmp_gt_i32_e32 vcc, 1, v9
	v_cndmask_b32_e32 v7, v10, v7, vcc
	v_and_b32_e32 v10, 7, v7
	v_lshrrev_b32_e32 v11, 16, v4
	v_cmp_lt_i32_e32 vcc, 5, v10
	v_cmp_eq_u32_e64 s[0:1], 3, v10
	v_mul_f16_sdwa v10, v115, v11 dst_sel:DWORD dst_unused:UNUSED_PAD src0_sel:WORD_1 src1_sel:DWORD
	v_fma_f16 v10, v115, v4, v10
	v_lshrrev_b32_e32 v7, 2, v7
	s_or_b64 vcc, s[0:1], vcc
	v_cvt_f32_f16_e32 v10, v10
	v_addc_co_u32_e32 v7, vcc, 0, v7, vcc
	v_cmp_gt_i32_e32 vcc, 31, v9
	v_cndmask_b32_e32 v7, v0, v7, vcc
	v_cmp_ne_u32_e32 vcc, 0, v5
	v_cndmask_b32_e64 v5, 0, 1, vcc
	v_cmp_eq_u32_e32 vcc, s10, v9
	v_cvt_f64_f32_e32 v[9:10], v10
	v_lshl_or_b32 v5, v5, 9, v0
	v_cndmask_b32_e32 v5, v7, v5, vcc
	v_lshrrev_b32_e32 v7, 16, v12
	v_mul_f64 v[9:10], v[9:10], s[2:3]
	v_and_or_b32 v5, v7, s11, v5
	v_and_b32_e32 v3, 0xffff, v3
	v_lshl_or_b32 v3, v5, 16, v3
	v_mov_b32_e32 v5, s4
	v_add_co_u32_e32 v1, vcc, s5, v1
	v_addc_co_u32_e32 v2, vcc, v2, v5, vcc
	global_store_dword v[1:2], v3, off
	v_and_or_b32 v3, v10, s6, v9
	v_cmp_ne_u32_e32 vcc, 0, v3
	v_cndmask_b32_e64 v3, 0, 1, vcc
	v_lshrrev_b32_e32 v5, 8, v10
	v_bfe_u32 v7, v10, 20, 11
	v_and_or_b32 v5, v5, s7, v3
	v_sub_u32_e32 v9, 0x3f1, v7
	v_or_b32_e32 v3, 0x1000, v5
	v_med3_i32 v9, v9, 0, 13
	v_lshrrev_b32_e32 v12, v9, v3
	v_lshlrev_b32_e32 v9, v9, v12
	v_mul_f16_sdwa v4, v115, v4 dst_sel:DWORD dst_unused:UNUSED_PAD src0_sel:WORD_1 src1_sel:DWORD
	v_cmp_ne_u32_e32 vcc, v9, v3
	v_fma_f16 v4, v115, v11, -v4
	v_cndmask_b32_e64 v3, 0, 1, vcc
	v_add_u32_e32 v7, 0xfffffc10, v7
	v_cvt_f32_f16_e32 v4, v4
	v_or_b32_e32 v3, v12, v3
	v_lshl_or_b32 v9, v7, 12, v5
	v_cmp_gt_i32_e32 vcc, 1, v7
	v_cndmask_b32_e32 v3, v9, v3, vcc
	v_and_b32_e32 v9, 7, v3
	v_cmp_lt_i32_e32 vcc, 5, v9
	v_cmp_eq_u32_e64 s[0:1], 3, v9
	v_lshrrev_b32_e32 v9, 2, v3
	v_cvt_f64_f32_e32 v[3:4], v4
	s_or_b64 vcc, s[0:1], vcc
	v_addc_co_u32_e32 v9, vcc, 0, v9, vcc
	v_mul_f64 v[3:4], v[3:4], s[2:3]
	v_cmp_gt_i32_e32 vcc, 31, v7
	v_cndmask_b32_e32 v9, v0, v9, vcc
	v_cmp_ne_u32_e32 vcc, 0, v5
	v_cndmask_b32_e64 v5, 0, 1, vcc
	v_lshl_or_b32 v5, v5, 9, v0
	v_cmp_eq_u32_e32 vcc, s10, v7
	v_cndmask_b32_e32 v5, v9, v5, vcc
	v_and_or_b32 v3, v4, s6, v3
	v_lshrrev_b32_e32 v7, 16, v10
	v_cmp_ne_u32_e32 vcc, 0, v3
	v_and_or_b32 v5, v7, s11, v5
	v_cndmask_b32_e64 v3, 0, 1, vcc
	v_lshrrev_b32_e32 v7, 8, v4
	v_bfe_u32 v9, v4, 20, 11
	v_and_or_b32 v3, v7, s7, v3
	v_sub_u32_e32 v10, 0x3f1, v9
	v_or_b32_e32 v7, 0x1000, v3
	v_med3_i32 v10, v10, 0, 13
	v_lshrrev_b32_e32 v11, v10, v7
	v_lshlrev_b32_e32 v10, v10, v11
	v_cmp_ne_u32_e32 vcc, v10, v7
	v_cndmask_b32_e64 v7, 0, 1, vcc
	v_add_u32_e32 v9, 0xfffffc10, v9
	v_or_b32_e32 v7, v11, v7
	v_lshl_or_b32 v10, v9, 12, v3
	v_cmp_gt_i32_e32 vcc, 1, v9
	v_cndmask_b32_e32 v7, v10, v7, vcc
	v_and_b32_e32 v10, 7, v7
	v_lshrrev_b32_e32 v11, 16, v6
	v_cmp_lt_i32_e32 vcc, 5, v10
	v_cmp_eq_u32_e64 s[0:1], 3, v10
	v_mul_f16_sdwa v10, v114, v11 dst_sel:DWORD dst_unused:UNUSED_PAD src0_sel:WORD_1 src1_sel:DWORD
	v_fma_f16 v10, v114, v6, v10
	v_lshrrev_b32_e32 v7, 2, v7
	s_or_b64 vcc, s[0:1], vcc
	v_cvt_f32_f16_e32 v10, v10
	v_addc_co_u32_e32 v7, vcc, 0, v7, vcc
	v_cmp_gt_i32_e32 vcc, 31, v9
	v_cndmask_b32_e32 v7, v0, v7, vcc
	v_cmp_ne_u32_e32 vcc, 0, v3
	v_cndmask_b32_e64 v3, 0, 1, vcc
	v_cmp_eq_u32_e32 vcc, s10, v9
	v_cvt_f64_f32_e32 v[9:10], v10
	v_lshl_or_b32 v3, v3, 9, v0
	v_cndmask_b32_e32 v3, v7, v3, vcc
	v_lshrrev_b32_e32 v4, 16, v4
	v_and_or_b32 v7, v4, s11, v3
	v_mul_f64 v[3:4], v[9:10], s[2:3]
	v_and_b32_e32 v5, 0xffff, v5
	v_lshl_or_b32 v5, v7, 16, v5
	v_mov_b32_e32 v7, s9
	v_add_co_u32_e32 v1, vcc, s8, v1
	v_addc_co_u32_e32 v2, vcc, v2, v7, vcc
	v_and_or_b32 v3, v4, s6, v3
	v_cmp_ne_u32_e32 vcc, 0, v3
	global_store_dword v[1:2], v5, off
	v_cndmask_b32_e64 v3, 0, 1, vcc
	v_lshrrev_b32_e32 v5, 8, v4
	v_bfe_u32 v7, v4, 20, 11
	v_and_or_b32 v3, v5, s7, v3
	v_sub_u32_e32 v9, 0x3f1, v7
	v_or_b32_e32 v5, 0x1000, v3
	v_med3_i32 v9, v9, 0, 13
	v_lshrrev_b32_e32 v10, v9, v5
	v_lshlrev_b32_e32 v9, v9, v10
	v_mul_f16_sdwa v6, v114, v6 dst_sel:DWORD dst_unused:UNUSED_PAD src0_sel:WORD_1 src1_sel:DWORD
	v_cmp_ne_u32_e32 vcc, v9, v5
	v_fma_f16 v6, v114, v11, -v6
	v_cndmask_b32_e64 v5, 0, 1, vcc
	v_add_u32_e32 v7, 0xfffffc10, v7
	v_cvt_f32_f16_e32 v6, v6
	v_or_b32_e32 v5, v10, v5
	v_lshl_or_b32 v9, v7, 12, v3
	v_cmp_gt_i32_e32 vcc, 1, v7
	v_cndmask_b32_e32 v5, v9, v5, vcc
	v_and_b32_e32 v9, 7, v5
	v_cmp_lt_i32_e32 vcc, 5, v9
	v_cmp_eq_u32_e64 s[0:1], 3, v9
	v_lshrrev_b32_e32 v9, 2, v5
	v_cvt_f64_f32_e32 v[5:6], v6
	s_or_b64 vcc, s[0:1], vcc
	v_addc_co_u32_e32 v9, vcc, 0, v9, vcc
	v_mul_f64 v[5:6], v[5:6], s[2:3]
	v_cmp_gt_i32_e32 vcc, 31, v7
	v_cndmask_b32_e32 v9, v0, v9, vcc
	v_cmp_ne_u32_e32 vcc, 0, v3
	v_cndmask_b32_e64 v3, 0, 1, vcc
	v_lshl_or_b32 v3, v3, 9, v0
	v_cmp_eq_u32_e32 vcc, s10, v7
	v_cndmask_b32_e32 v3, v9, v3, vcc
	v_lshrrev_b32_e32 v4, 16, v4
	v_and_or_b32 v7, v4, s11, v3
	v_and_or_b32 v3, v6, s6, v5
	v_cmp_ne_u32_e32 vcc, 0, v3
	v_cndmask_b32_e64 v3, 0, 1, vcc
	v_lshrrev_b32_e32 v4, 8, v6
	v_bfe_u32 v5, v6, 20, 11
	v_and_or_b32 v3, v4, s7, v3
	v_sub_u32_e32 v9, 0x3f1, v5
	v_or_b32_e32 v4, 0x1000, v3
	v_med3_i32 v9, v9, 0, 13
	v_lshrrev_b32_e32 v10, v9, v4
	v_lshlrev_b32_e32 v9, v9, v10
	v_cmp_ne_u32_e32 vcc, v9, v4
	v_cndmask_b32_e64 v4, 0, 1, vcc
	v_add_u32_e32 v5, 0xfffffc10, v5
	v_or_b32_e32 v4, v10, v4
	v_lshl_or_b32 v9, v5, 12, v3
	v_cmp_gt_i32_e32 vcc, 1, v5
	v_cndmask_b32_e32 v4, v9, v4, vcc
	v_and_b32_e32 v9, 7, v4
	v_cmp_lt_i32_e32 vcc, 5, v9
	v_cmp_eq_u32_e64 s[0:1], 3, v9
	v_lshrrev_b32_e32 v9, 16, v8
	v_lshrrev_b32_e32 v4, 2, v4
	s_or_b64 vcc, s[0:1], vcc
	v_mul_f16_sdwa v10, v117, v9 dst_sel:DWORD dst_unused:UNUSED_PAD src0_sel:WORD_1 src1_sel:DWORD
	v_addc_co_u32_e32 v4, vcc, 0, v4, vcc
	v_fma_f16 v10, v117, v8, v10
	v_cmp_gt_i32_e32 vcc, 31, v5
	v_cvt_f32_f16_e32 v10, v10
	v_cndmask_b32_e32 v4, v0, v4, vcc
	v_cmp_ne_u32_e32 vcc, 0, v3
	v_cndmask_b32_e64 v3, 0, 1, vcc
	v_lshl_or_b32 v3, v3, 9, v0
	v_cmp_eq_u32_e32 vcc, s10, v5
	v_cndmask_b32_e32 v5, v4, v3, vcc
	v_cvt_f64_f32_e32 v[3:4], v10
	v_lshrrev_b32_e32 v6, 16, v6
	v_and_or_b32 v5, v6, s11, v5
	v_and_b32_e32 v6, 0xffff, v7
	v_mul_f64 v[3:4], v[3:4], s[2:3]
	v_lshl_or_b32 v5, v5, 16, v6
	v_mov_b32_e32 v6, s4
	v_add_co_u32_e32 v1, vcc, s5, v1
	v_addc_co_u32_e32 v2, vcc, v2, v6, vcc
	global_store_dword v[1:2], v5, off
	v_and_or_b32 v3, v4, s6, v3
	v_cmp_ne_u32_e32 vcc, 0, v3
	v_cndmask_b32_e64 v3, 0, 1, vcc
	v_lshrrev_b32_e32 v5, 8, v4
	v_bfe_u32 v6, v4, 20, 11
	v_and_or_b32 v3, v5, s7, v3
	v_sub_u32_e32 v7, 0x3f1, v6
	v_or_b32_e32 v5, 0x1000, v3
	v_med3_i32 v7, v7, 0, 13
	v_lshrrev_b32_e32 v10, v7, v5
	v_lshlrev_b32_e32 v7, v7, v10
	v_mul_f16_sdwa v8, v117, v8 dst_sel:DWORD dst_unused:UNUSED_PAD src0_sel:WORD_1 src1_sel:DWORD
	v_cmp_ne_u32_e32 vcc, v7, v5
	v_fma_f16 v8, v117, v9, -v8
	v_cndmask_b32_e64 v5, 0, 1, vcc
	v_add_u32_e32 v7, 0xfffffc10, v6
	v_cvt_f32_f16_e32 v8, v8
	v_or_b32_e32 v5, v10, v5
	v_lshl_or_b32 v6, v7, 12, v3
	v_cmp_gt_i32_e32 vcc, 1, v7
	v_cndmask_b32_e32 v5, v6, v5, vcc
	v_and_b32_e32 v6, 7, v5
	v_cmp_lt_i32_e32 vcc, 5, v6
	v_cmp_eq_u32_e64 s[0:1], 3, v6
	v_lshrrev_b32_e32 v9, 2, v5
	v_cvt_f64_f32_e32 v[5:6], v8
	s_or_b64 vcc, s[0:1], vcc
	v_addc_co_u32_e32 v8, vcc, 0, v9, vcc
	v_mul_f64 v[5:6], v[5:6], s[2:3]
	v_cmp_gt_i32_e32 vcc, 31, v7
	v_cndmask_b32_e32 v8, v0, v8, vcc
	v_cmp_ne_u32_e32 vcc, 0, v3
	v_cndmask_b32_e64 v3, 0, 1, vcc
	v_lshl_or_b32 v3, v3, 9, v0
	v_cmp_eq_u32_e32 vcc, s10, v7
	v_cndmask_b32_e32 v3, v8, v3, vcc
	v_lshrrev_b32_e32 v4, 16, v4
	v_and_or_b32 v9, v4, s11, v3
	v_and_or_b32 v3, v6, s6, v5
	v_cmp_ne_u32_e32 vcc, 0, v3
	v_cndmask_b32_e64 v3, 0, 1, vcc
	v_lshrrev_b32_e32 v4, 8, v6
	v_and_or_b32 v5, v4, s7, v3
	v_bfe_u32 v4, v6, 20, 11
	v_sub_u32_e32 v7, 0x3f1, v4
	v_or_b32_e32 v3, 0x1000, v5
	v_med3_i32 v7, v7, 0, 13
	v_lshrrev_b32_e32 v8, v7, v3
	v_lshlrev_b32_e32 v7, v7, v8
	v_cmp_ne_u32_e32 vcc, v7, v3
	v_cndmask_b32_e64 v3, 0, 1, vcc
	v_add_u32_e32 v7, 0xfffffc10, v4
	v_or_b32_e32 v3, v8, v3
	v_lshl_or_b32 v4, v7, 12, v5
	v_cmp_gt_i32_e32 vcc, 1, v7
	v_cndmask_b32_e32 v3, v4, v3, vcc
	v_and_b32_e32 v4, 7, v3
	v_cmp_lt_i32_e32 vcc, 5, v4
	v_cmp_eq_u32_e64 s[0:1], 3, v4
	v_lshrrev_b32_e32 v3, 2, v3
	s_or_b64 vcc, s[0:1], vcc
	v_addc_co_u32_e32 v8, vcc, 0, v3, vcc
	ds_read2_b32 v[3:4], v119 offset0:110 offset1:235
	v_cmp_gt_i32_e32 vcc, 31, v7
	v_cndmask_b32_e32 v8, v0, v8, vcc
	v_cmp_ne_u32_e32 vcc, 0, v5
	v_cndmask_b32_e64 v5, 0, 1, vcc
	s_waitcnt lgkmcnt(0)
	v_lshrrev_b32_e32 v10, 16, v3
	v_mul_f16_sdwa v11, v112, v10 dst_sel:DWORD dst_unused:UNUSED_PAD src0_sel:WORD_1 src1_sel:DWORD
	v_fma_f16 v11, v112, v3, v11
	v_cvt_f32_f16_e32 v11, v11
	v_lshl_or_b32 v5, v5, 9, v0
	v_cmp_eq_u32_e32 vcc, s10, v7
	v_cndmask_b32_e32 v5, v8, v5, vcc
	v_cvt_f64_f32_e32 v[7:8], v11
	v_lshrrev_b32_e32 v6, 16, v6
	v_and_or_b32 v11, v6, s11, v5
	v_add_co_u32_e32 v1, vcc, s5, v1
	v_mul_f64 v[5:6], v[7:8], s[2:3]
	v_mov_b32_e32 v8, s4
	v_and_b32_e32 v9, 0xffff, v9
	v_addc_co_u32_e32 v2, vcc, v2, v8, vcc
	v_lshl_or_b32 v7, v11, 16, v9
	global_store_dword v[1:2], v7, off
	v_mul_f16_sdwa v3, v112, v3 dst_sel:DWORD dst_unused:UNUSED_PAD src0_sel:WORD_1 src1_sel:DWORD
	v_and_or_b32 v5, v6, s6, v5
	v_cmp_ne_u32_e32 vcc, 0, v5
	v_cndmask_b32_e64 v5, 0, 1, vcc
	v_lshrrev_b32_e32 v7, 8, v6
	v_bfe_u32 v8, v6, 20, 11
	v_and_or_b32 v5, v7, s7, v5
	v_sub_u32_e32 v9, 0x3f1, v8
	v_or_b32_e32 v7, 0x1000, v5
	v_med3_i32 v9, v9, 0, 13
	v_lshrrev_b32_e32 v11, v9, v7
	v_lshlrev_b32_e32 v9, v9, v11
	v_cmp_ne_u32_e32 vcc, v9, v7
	v_fma_f16 v3, v112, v10, -v3
	v_cndmask_b32_e64 v7, 0, 1, vcc
	v_add_u32_e32 v9, 0xfffffc10, v8
	v_cvt_f32_f16_e32 v3, v3
	v_or_b32_e32 v7, v11, v7
	v_lshl_or_b32 v8, v9, 12, v5
	v_cmp_gt_i32_e32 vcc, 1, v9
	v_cndmask_b32_e32 v7, v8, v7, vcc
	v_and_b32_e32 v8, 7, v7
	v_cmp_lt_i32_e32 vcc, 5, v8
	v_cmp_eq_u32_e64 s[0:1], 3, v8
	v_lshrrev_b32_e32 v10, 2, v7
	v_cvt_f64_f32_e32 v[7:8], v3
	s_or_b64 vcc, s[0:1], vcc
	v_addc_co_u32_e32 v3, vcc, 0, v10, vcc
	v_mul_f64 v[7:8], v[7:8], s[2:3]
	v_cmp_gt_i32_e32 vcc, 31, v9
	v_cndmask_b32_e32 v3, v0, v3, vcc
	v_cmp_ne_u32_e32 vcc, 0, v5
	v_cndmask_b32_e64 v5, 0, 1, vcc
	v_lshl_or_b32 v5, v5, 9, v0
	v_cmp_eq_u32_e32 vcc, s10, v9
	v_cndmask_b32_e32 v3, v3, v5, vcc
	v_lshrrev_b32_e32 v5, 16, v6
	v_and_or_b32 v3, v5, s11, v3
	v_and_or_b32 v5, v8, s6, v7
	v_cmp_ne_u32_e32 vcc, 0, v5
	v_cndmask_b32_e64 v5, 0, 1, vcc
	v_lshrrev_b32_e32 v6, 8, v8
	v_and_or_b32 v7, v6, s7, v5
	v_bfe_u32 v6, v8, 20, 11
	v_sub_u32_e32 v9, 0x3f1, v6
	v_or_b32_e32 v5, 0x1000, v7
	v_med3_i32 v9, v9, 0, 13
	v_lshrrev_b32_e32 v10, v9, v5
	v_lshlrev_b32_e32 v9, v9, v10
	v_cmp_ne_u32_e32 vcc, v9, v5
	v_cndmask_b32_e64 v5, 0, 1, vcc
	v_add_u32_e32 v9, 0xfffffc10, v6
	v_or_b32_e32 v5, v10, v5
	v_lshl_or_b32 v6, v9, 12, v7
	v_cmp_gt_i32_e32 vcc, 1, v9
	v_cndmask_b32_e32 v5, v6, v5, vcc
	v_and_b32_e32 v6, 7, v5
	v_cmp_lt_i32_e32 vcc, 5, v6
	v_cmp_eq_u32_e64 s[0:1], 3, v6
	v_lshrrev_b32_e32 v5, 2, v5
	s_or_b64 vcc, s[0:1], vcc
	v_addc_co_u32_e32 v10, vcc, 0, v5, vcc
	ds_read2_b32 v[5:6], v118 offset0:80 offset1:205
	v_cmp_gt_i32_e32 vcc, 31, v9
	v_cndmask_b32_e32 v10, v0, v10, vcc
	v_cmp_ne_u32_e32 vcc, 0, v7
	v_cndmask_b32_e64 v7, 0, 1, vcc
	s_waitcnt lgkmcnt(0)
	v_lshrrev_b32_e32 v11, 16, v5
	v_mul_f16_sdwa v12, v111, v11 dst_sel:DWORD dst_unused:UNUSED_PAD src0_sel:WORD_1 src1_sel:DWORD
	v_fma_f16 v12, v111, v5, v12
	v_cvt_f32_f16_e32 v12, v12
	v_lshl_or_b32 v7, v7, 9, v0
	v_cmp_eq_u32_e32 vcc, s10, v9
	v_cndmask_b32_e32 v7, v10, v7, vcc
	v_cvt_f64_f32_e32 v[9:10], v12
	v_lshrrev_b32_e32 v8, 16, v8
	v_and_or_b32 v12, v8, s11, v7
	v_and_b32_e32 v3, 0xffff, v3
	v_mul_f64 v[7:8], v[9:10], s[2:3]
	v_mov_b32_e32 v9, s9
	v_add_co_u32_e32 v1, vcc, s8, v1
	v_lshl_or_b32 v3, v12, 16, v3
	v_addc_co_u32_e32 v2, vcc, v2, v9, vcc
	global_store_dword v[1:2], v3, off
	v_and_or_b32 v3, v8, s6, v7
	v_cmp_ne_u32_e32 vcc, 0, v3
	v_cndmask_b32_e64 v3, 0, 1, vcc
	v_lshrrev_b32_e32 v7, 8, v8
	v_bfe_u32 v9, v8, 20, 11
	v_and_or_b32 v3, v7, s7, v3
	v_sub_u32_e32 v10, 0x3f1, v9
	v_or_b32_e32 v7, 0x1000, v3
	v_med3_i32 v10, v10, 0, 13
	v_lshrrev_b32_e32 v12, v10, v7
	v_lshlrev_b32_e32 v10, v10, v12
	v_cmp_ne_u32_e32 vcc, v10, v7
	v_mul_f16_sdwa v5, v111, v5 dst_sel:DWORD dst_unused:UNUSED_PAD src0_sel:WORD_1 src1_sel:DWORD
	v_cndmask_b32_e64 v7, 0, 1, vcc
	v_fma_f16 v5, v111, v11, -v5
	v_or_b32_e32 v7, v12, v7
	v_add_u32_e32 v12, 0xfffffc10, v9
	v_cvt_f32_f16_e32 v5, v5
	v_lshl_or_b32 v9, v12, 12, v3
	v_cmp_gt_i32_e32 vcc, 1, v12
	v_cndmask_b32_e32 v7, v9, v7, vcc
	v_and_b32_e32 v9, 7, v7
	v_cmp_lt_i32_e32 vcc, 5, v9
	v_cmp_eq_u32_e64 s[0:1], 3, v9
	v_cvt_f64_f32_e32 v[9:10], v5
	v_lshrrev_b32_e32 v7, 2, v7
	s_or_b64 vcc, s[0:1], vcc
	v_addc_co_u32_e32 v5, vcc, 0, v7, vcc
	v_mul_f64 v[9:10], v[9:10], s[2:3]
	v_cmp_gt_i32_e32 vcc, 31, v12
	v_cndmask_b32_e32 v5, v0, v5, vcc
	v_cmp_ne_u32_e32 vcc, 0, v3
	v_cndmask_b32_e64 v3, 0, 1, vcc
	v_lshl_or_b32 v3, v3, 9, v0
	v_cmp_eq_u32_e32 vcc, s10, v12
	v_cndmask_b32_e32 v3, v5, v3, vcc
	v_lshrrev_b32_e32 v5, 16, v8
	v_and_or_b32 v3, v5, s11, v3
	v_and_or_b32 v5, v10, s6, v9
	v_cmp_ne_u32_e32 vcc, 0, v5
	v_cndmask_b32_e64 v5, 0, 1, vcc
	v_lshrrev_b32_e32 v7, 8, v10
	v_bfe_u32 v8, v10, 20, 11
	v_and_or_b32 v5, v7, s7, v5
	v_sub_u32_e32 v9, 0x3f1, v8
	v_or_b32_e32 v7, 0x1000, v5
	v_med3_i32 v9, v9, 0, 13
	v_lshrrev_b32_e32 v11, v9, v7
	v_lshlrev_b32_e32 v9, v9, v11
	v_cmp_ne_u32_e32 vcc, v9, v7
	v_cndmask_b32_e64 v7, 0, 1, vcc
	v_add_u32_e32 v9, 0xfffffc10, v8
	v_or_b32_e32 v7, v11, v7
	v_lshl_or_b32 v8, v9, 12, v5
	v_cmp_gt_i32_e32 vcc, 1, v9
	v_cndmask_b32_e32 v7, v8, v7, vcc
	v_and_b32_e32 v8, 7, v7
	v_cmp_lt_i32_e32 vcc, 5, v8
	v_cmp_eq_u32_e64 s[0:1], 3, v8
	v_lshrrev_b32_e32 v7, 2, v7
	s_or_b64 vcc, s[0:1], vcc
	v_addc_co_u32_e32 v11, vcc, 0, v7, vcc
	ds_read2_b32 v[7:8], v116 offset0:50 offset1:175
	v_cmp_gt_i32_e32 vcc, 31, v9
	v_cndmask_b32_e32 v11, v0, v11, vcc
	v_cmp_ne_u32_e32 vcc, 0, v5
	v_cndmask_b32_e64 v5, 0, 1, vcc
	s_waitcnt lgkmcnt(0)
	v_lshrrev_b32_e32 v13, 16, v7
	v_mul_f16_sdwa v12, v113, v13 dst_sel:DWORD dst_unused:UNUSED_PAD src0_sel:WORD_1 src1_sel:DWORD
	v_fma_f16 v12, v113, v7, v12
	v_cvt_f32_f16_e32 v12, v12
	v_lshl_or_b32 v5, v5, 9, v0
	v_cmp_eq_u32_e32 vcc, s10, v9
	v_cndmask_b32_e32 v5, v11, v5, vcc
	v_cvt_f64_f32_e32 v[11:12], v12
	v_lshrrev_b32_e32 v9, 16, v10
	v_and_or_b32 v5, v9, s11, v5
	v_and_b32_e32 v3, 0xffff, v3
	v_mul_f64 v[9:10], v[11:12], s[2:3]
	v_lshl_or_b32 v3, v5, 16, v3
	v_mov_b32_e32 v5, s4
	v_add_co_u32_e32 v1, vcc, s5, v1
	v_addc_co_u32_e32 v2, vcc, v2, v5, vcc
	global_store_dword v[1:2], v3, off
	v_and_or_b32 v3, v10, s6, v9
	v_cmp_ne_u32_e32 vcc, 0, v3
	v_cndmask_b32_e64 v3, 0, 1, vcc
	v_lshrrev_b32_e32 v5, 8, v10
	v_bfe_u32 v9, v10, 20, 11
	v_and_or_b32 v3, v5, s7, v3
	v_sub_u32_e32 v11, 0x3f1, v9
	v_or_b32_e32 v5, 0x1000, v3
	v_med3_i32 v11, v11, 0, 13
	v_lshrrev_b32_e32 v12, v11, v5
	v_lshlrev_b32_e32 v11, v11, v12
	v_mul_f16_sdwa v7, v113, v7 dst_sel:DWORD dst_unused:UNUSED_PAD src0_sel:WORD_1 src1_sel:DWORD
	v_cmp_ne_u32_e32 vcc, v11, v5
	v_fma_f16 v7, v113, v13, -v7
	v_cndmask_b32_e64 v5, 0, 1, vcc
	v_add_u32_e32 v9, 0xfffffc10, v9
	v_cvt_f32_f16_e32 v7, v7
	v_or_b32_e32 v5, v12, v5
	v_lshl_or_b32 v11, v9, 12, v3
	v_cmp_gt_i32_e32 vcc, 1, v9
	v_cndmask_b32_e32 v5, v11, v5, vcc
	v_and_b32_e32 v11, 7, v5
	v_cmp_lt_i32_e32 vcc, 5, v11
	v_cmp_eq_u32_e64 s[0:1], 3, v11
	v_cvt_f64_f32_e32 v[11:12], v7
	v_lshrrev_b32_e32 v5, 2, v5
	s_or_b64 vcc, s[0:1], vcc
	v_addc_co_u32_e32 v5, vcc, 0, v5, vcc
	v_mul_f64 v[11:12], v[11:12], s[2:3]
	v_cmp_gt_i32_e32 vcc, 31, v9
	v_cndmask_b32_e32 v5, v0, v5, vcc
	v_cmp_ne_u32_e32 vcc, 0, v3
	v_cndmask_b32_e64 v3, 0, 1, vcc
	v_lshl_or_b32 v3, v3, 9, v0
	v_cmp_eq_u32_e32 vcc, s10, v9
	v_cndmask_b32_e32 v3, v5, v3, vcc
	v_lshrrev_b32_e32 v5, 16, v10
	v_and_or_b32 v3, v5, s11, v3
	v_and_or_b32 v5, v12, s6, v11
	v_cmp_ne_u32_e32 vcc, 0, v5
	v_cndmask_b32_e64 v5, 0, 1, vcc
	v_lshrrev_b32_e32 v7, 8, v12
	v_bfe_u32 v9, v12, 20, 11
	v_and_or_b32 v5, v7, s7, v5
	v_sub_u32_e32 v10, 0x3f1, v9
	v_or_b32_e32 v7, 0x1000, v5
	v_med3_i32 v10, v10, 0, 13
	v_lshrrev_b32_e32 v11, v10, v7
	v_lshlrev_b32_e32 v10, v10, v11
	v_cmp_ne_u32_e32 vcc, v10, v7
	v_cndmask_b32_e64 v7, 0, 1, vcc
	v_add_u32_e32 v9, 0xfffffc10, v9
	v_or_b32_e32 v7, v11, v7
	v_lshl_or_b32 v10, v9, 12, v5
	v_cmp_gt_i32_e32 vcc, 1, v9
	v_cndmask_b32_e32 v7, v10, v7, vcc
	v_and_b32_e32 v10, 7, v7
	v_lshrrev_b32_e32 v11, 16, v4
	v_cmp_lt_i32_e32 vcc, 5, v10
	v_cmp_eq_u32_e64 s[0:1], 3, v10
	v_mul_f16_sdwa v10, v105, v11 dst_sel:DWORD dst_unused:UNUSED_PAD src0_sel:WORD_1 src1_sel:DWORD
	v_fma_f16 v10, v105, v4, v10
	v_lshrrev_b32_e32 v7, 2, v7
	s_or_b64 vcc, s[0:1], vcc
	v_cvt_f32_f16_e32 v10, v10
	v_addc_co_u32_e32 v7, vcc, 0, v7, vcc
	v_cmp_gt_i32_e32 vcc, 31, v9
	v_cndmask_b32_e32 v7, v0, v7, vcc
	v_cmp_ne_u32_e32 vcc, 0, v5
	v_cndmask_b32_e64 v5, 0, 1, vcc
	v_cmp_eq_u32_e32 vcc, s10, v9
	v_cvt_f64_f32_e32 v[9:10], v10
	v_lshl_or_b32 v5, v5, 9, v0
	v_cndmask_b32_e32 v5, v7, v5, vcc
	v_lshrrev_b32_e32 v7, 16, v12
	v_mul_f64 v[9:10], v[9:10], s[2:3]
	v_and_or_b32 v5, v7, s11, v5
	v_and_b32_e32 v3, 0xffff, v3
	v_lshl_or_b32 v3, v5, 16, v3
	v_mov_b32_e32 v5, s4
	v_add_co_u32_e32 v1, vcc, s5, v1
	v_addc_co_u32_e32 v2, vcc, v2, v5, vcc
	global_store_dword v[1:2], v3, off
	v_and_or_b32 v3, v10, s6, v9
	v_cmp_ne_u32_e32 vcc, 0, v3
	v_cndmask_b32_e64 v3, 0, 1, vcc
	v_lshrrev_b32_e32 v5, 8, v10
	v_bfe_u32 v7, v10, 20, 11
	v_and_or_b32 v5, v5, s7, v3
	v_sub_u32_e32 v9, 0x3f1, v7
	v_or_b32_e32 v3, 0x1000, v5
	v_med3_i32 v9, v9, 0, 13
	v_lshrrev_b32_e32 v12, v9, v3
	v_lshlrev_b32_e32 v9, v9, v12
	v_mul_f16_sdwa v4, v105, v4 dst_sel:DWORD dst_unused:UNUSED_PAD src0_sel:WORD_1 src1_sel:DWORD
	v_cmp_ne_u32_e32 vcc, v9, v3
	v_fma_f16 v4, v105, v11, -v4
	v_cndmask_b32_e64 v3, 0, 1, vcc
	v_add_u32_e32 v7, 0xfffffc10, v7
	v_cvt_f32_f16_e32 v4, v4
	v_or_b32_e32 v3, v12, v3
	v_lshl_or_b32 v9, v7, 12, v5
	v_cmp_gt_i32_e32 vcc, 1, v7
	v_cndmask_b32_e32 v3, v9, v3, vcc
	v_and_b32_e32 v9, 7, v3
	v_cmp_lt_i32_e32 vcc, 5, v9
	v_cmp_eq_u32_e64 s[0:1], 3, v9
	v_lshrrev_b32_e32 v9, 2, v3
	v_cvt_f64_f32_e32 v[3:4], v4
	s_or_b64 vcc, s[0:1], vcc
	v_addc_co_u32_e32 v9, vcc, 0, v9, vcc
	v_mul_f64 v[3:4], v[3:4], s[2:3]
	v_cmp_gt_i32_e32 vcc, 31, v7
	v_cndmask_b32_e32 v9, v0, v9, vcc
	v_cmp_ne_u32_e32 vcc, 0, v5
	v_cndmask_b32_e64 v5, 0, 1, vcc
	v_lshl_or_b32 v5, v5, 9, v0
	v_cmp_eq_u32_e32 vcc, s10, v7
	v_cndmask_b32_e32 v5, v9, v5, vcc
	v_and_or_b32 v3, v4, s6, v3
	v_lshrrev_b32_e32 v7, 16, v10
	v_cmp_ne_u32_e32 vcc, 0, v3
	v_and_or_b32 v5, v7, s11, v5
	v_cndmask_b32_e64 v3, 0, 1, vcc
	v_lshrrev_b32_e32 v7, 8, v4
	v_bfe_u32 v9, v4, 20, 11
	v_and_or_b32 v3, v7, s7, v3
	v_sub_u32_e32 v10, 0x3f1, v9
	v_or_b32_e32 v7, 0x1000, v3
	v_med3_i32 v10, v10, 0, 13
	v_lshrrev_b32_e32 v11, v10, v7
	v_lshlrev_b32_e32 v10, v10, v11
	v_cmp_ne_u32_e32 vcc, v10, v7
	v_cndmask_b32_e64 v7, 0, 1, vcc
	v_add_u32_e32 v9, 0xfffffc10, v9
	v_or_b32_e32 v7, v11, v7
	v_lshl_or_b32 v10, v9, 12, v3
	v_cmp_gt_i32_e32 vcc, 1, v9
	v_cndmask_b32_e32 v7, v10, v7, vcc
	v_and_b32_e32 v10, 7, v7
	v_lshrrev_b32_e32 v11, 16, v6
	v_cmp_lt_i32_e32 vcc, 5, v10
	v_cmp_eq_u32_e64 s[0:1], 3, v10
	v_mul_f16_sdwa v10, v107, v11 dst_sel:DWORD dst_unused:UNUSED_PAD src0_sel:WORD_1 src1_sel:DWORD
	v_fma_f16 v10, v107, v6, v10
	v_lshrrev_b32_e32 v7, 2, v7
	s_or_b64 vcc, s[0:1], vcc
	v_cvt_f32_f16_e32 v10, v10
	v_addc_co_u32_e32 v7, vcc, 0, v7, vcc
	v_cmp_gt_i32_e32 vcc, 31, v9
	v_cndmask_b32_e32 v7, v0, v7, vcc
	v_cmp_ne_u32_e32 vcc, 0, v3
	v_cndmask_b32_e64 v3, 0, 1, vcc
	v_cmp_eq_u32_e32 vcc, s10, v9
	v_cvt_f64_f32_e32 v[9:10], v10
	v_lshl_or_b32 v3, v3, 9, v0
	v_cndmask_b32_e32 v3, v7, v3, vcc
	v_lshrrev_b32_e32 v4, 16, v4
	v_and_or_b32 v7, v4, s11, v3
	v_mul_f64 v[3:4], v[9:10], s[2:3]
	v_and_b32_e32 v5, 0xffff, v5
	v_lshl_or_b32 v5, v7, 16, v5
	v_mov_b32_e32 v7, s9
	v_add_co_u32_e32 v1, vcc, s8, v1
	v_addc_co_u32_e32 v2, vcc, v2, v7, vcc
	v_and_or_b32 v3, v4, s6, v3
	v_cmp_ne_u32_e32 vcc, 0, v3
	global_store_dword v[1:2], v5, off
	v_cndmask_b32_e64 v3, 0, 1, vcc
	v_lshrrev_b32_e32 v5, 8, v4
	v_bfe_u32 v7, v4, 20, 11
	v_and_or_b32 v3, v5, s7, v3
	v_sub_u32_e32 v9, 0x3f1, v7
	v_or_b32_e32 v5, 0x1000, v3
	v_med3_i32 v9, v9, 0, 13
	v_lshrrev_b32_e32 v10, v9, v5
	v_lshlrev_b32_e32 v9, v9, v10
	v_mul_f16_sdwa v6, v107, v6 dst_sel:DWORD dst_unused:UNUSED_PAD src0_sel:WORD_1 src1_sel:DWORD
	v_cmp_ne_u32_e32 vcc, v9, v5
	v_fma_f16 v6, v107, v11, -v6
	v_cndmask_b32_e64 v5, 0, 1, vcc
	v_add_u32_e32 v7, 0xfffffc10, v7
	v_cvt_f32_f16_e32 v6, v6
	v_or_b32_e32 v5, v10, v5
	v_lshl_or_b32 v9, v7, 12, v3
	v_cmp_gt_i32_e32 vcc, 1, v7
	v_cndmask_b32_e32 v5, v9, v5, vcc
	v_and_b32_e32 v9, 7, v5
	v_cmp_lt_i32_e32 vcc, 5, v9
	v_cmp_eq_u32_e64 s[0:1], 3, v9
	v_lshrrev_b32_e32 v9, 2, v5
	v_cvt_f64_f32_e32 v[5:6], v6
	s_or_b64 vcc, s[0:1], vcc
	v_addc_co_u32_e32 v9, vcc, 0, v9, vcc
	v_mul_f64 v[5:6], v[5:6], s[2:3]
	v_cmp_gt_i32_e32 vcc, 31, v7
	v_cndmask_b32_e32 v9, v0, v9, vcc
	v_cmp_ne_u32_e32 vcc, 0, v3
	v_cndmask_b32_e64 v3, 0, 1, vcc
	v_lshl_or_b32 v3, v3, 9, v0
	v_cmp_eq_u32_e32 vcc, s10, v7
	v_cndmask_b32_e32 v3, v9, v3, vcc
	v_lshrrev_b32_e32 v4, 16, v4
	v_and_or_b32 v7, v4, s11, v3
	v_and_or_b32 v3, v6, s6, v5
	v_cmp_ne_u32_e32 vcc, 0, v3
	v_cndmask_b32_e64 v3, 0, 1, vcc
	v_lshrrev_b32_e32 v4, 8, v6
	v_bfe_u32 v5, v6, 20, 11
	v_and_or_b32 v3, v4, s7, v3
	v_sub_u32_e32 v9, 0x3f1, v5
	v_or_b32_e32 v4, 0x1000, v3
	v_med3_i32 v9, v9, 0, 13
	v_lshrrev_b32_e32 v10, v9, v4
	v_lshlrev_b32_e32 v9, v9, v10
	v_cmp_ne_u32_e32 vcc, v9, v4
	v_cndmask_b32_e64 v4, 0, 1, vcc
	v_add_u32_e32 v5, 0xfffffc10, v5
	v_or_b32_e32 v4, v10, v4
	v_lshl_or_b32 v9, v5, 12, v3
	v_cmp_gt_i32_e32 vcc, 1, v5
	v_cndmask_b32_e32 v4, v9, v4, vcc
	v_and_b32_e32 v9, 7, v4
	v_cmp_lt_i32_e32 vcc, 5, v9
	v_cmp_eq_u32_e64 s[0:1], 3, v9
	v_lshrrev_b32_e32 v9, 16, v8
	v_lshrrev_b32_e32 v4, 2, v4
	s_or_b64 vcc, s[0:1], vcc
	v_mul_f16_sdwa v10, v108, v9 dst_sel:DWORD dst_unused:UNUSED_PAD src0_sel:WORD_1 src1_sel:DWORD
	v_addc_co_u32_e32 v4, vcc, 0, v4, vcc
	v_fma_f16 v10, v108, v8, v10
	v_cmp_gt_i32_e32 vcc, 31, v5
	v_cvt_f32_f16_e32 v10, v10
	v_cndmask_b32_e32 v4, v0, v4, vcc
	v_cmp_ne_u32_e32 vcc, 0, v3
	v_cndmask_b32_e64 v3, 0, 1, vcc
	v_lshl_or_b32 v3, v3, 9, v0
	v_cmp_eq_u32_e32 vcc, s10, v5
	v_cndmask_b32_e32 v5, v4, v3, vcc
	v_cvt_f64_f32_e32 v[3:4], v10
	v_lshrrev_b32_e32 v6, 16, v6
	v_and_or_b32 v5, v6, s11, v5
	v_and_b32_e32 v6, 0xffff, v7
	v_mul_f64 v[3:4], v[3:4], s[2:3]
	v_lshl_or_b32 v5, v5, 16, v6
	v_mov_b32_e32 v6, s4
	v_add_co_u32_e32 v1, vcc, s5, v1
	v_addc_co_u32_e32 v2, vcc, v2, v6, vcc
	global_store_dword v[1:2], v5, off
	v_and_or_b32 v3, v4, s6, v3
	v_cmp_ne_u32_e32 vcc, 0, v3
	v_cndmask_b32_e64 v3, 0, 1, vcc
	v_lshrrev_b32_e32 v5, 8, v4
	v_bfe_u32 v6, v4, 20, 11
	v_and_or_b32 v3, v5, s7, v3
	v_sub_u32_e32 v7, 0x3f1, v6
	v_or_b32_e32 v5, 0x1000, v3
	v_med3_i32 v7, v7, 0, 13
	v_lshrrev_b32_e32 v10, v7, v5
	v_lshlrev_b32_e32 v7, v7, v10
	v_mul_f16_sdwa v8, v108, v8 dst_sel:DWORD dst_unused:UNUSED_PAD src0_sel:WORD_1 src1_sel:DWORD
	v_cmp_ne_u32_e32 vcc, v7, v5
	v_fma_f16 v8, v108, v9, -v8
	v_cndmask_b32_e64 v5, 0, 1, vcc
	v_add_u32_e32 v7, 0xfffffc10, v6
	v_cvt_f32_f16_e32 v8, v8
	v_or_b32_e32 v5, v10, v5
	v_lshl_or_b32 v6, v7, 12, v3
	v_cmp_gt_i32_e32 vcc, 1, v7
	v_cndmask_b32_e32 v5, v6, v5, vcc
	v_and_b32_e32 v6, 7, v5
	v_cmp_lt_i32_e32 vcc, 5, v6
	v_cmp_eq_u32_e64 s[0:1], 3, v6
	v_lshrrev_b32_e32 v9, 2, v5
	v_cvt_f64_f32_e32 v[5:6], v8
	s_or_b64 vcc, s[0:1], vcc
	v_addc_co_u32_e32 v8, vcc, 0, v9, vcc
	v_mul_f64 v[5:6], v[5:6], s[2:3]
	v_cmp_gt_i32_e32 vcc, 31, v7
	v_cndmask_b32_e32 v8, v0, v8, vcc
	v_cmp_ne_u32_e32 vcc, 0, v3
	v_cndmask_b32_e64 v3, 0, 1, vcc
	v_lshl_or_b32 v3, v3, 9, v0
	v_cmp_eq_u32_e32 vcc, s10, v7
	v_cndmask_b32_e32 v3, v8, v3, vcc
	v_lshrrev_b32_e32 v4, 16, v4
	v_and_or_b32 v9, v4, s11, v3
	v_and_or_b32 v3, v6, s6, v5
	v_cmp_ne_u32_e32 vcc, 0, v3
	v_cndmask_b32_e64 v3, 0, 1, vcc
	v_lshrrev_b32_e32 v4, 8, v6
	v_and_or_b32 v5, v4, s7, v3
	v_bfe_u32 v4, v6, 20, 11
	v_sub_u32_e32 v7, 0x3f1, v4
	v_or_b32_e32 v3, 0x1000, v5
	v_med3_i32 v7, v7, 0, 13
	v_lshrrev_b32_e32 v8, v7, v3
	v_lshlrev_b32_e32 v7, v7, v8
	v_cmp_ne_u32_e32 vcc, v7, v3
	v_cndmask_b32_e64 v3, 0, 1, vcc
	v_add_u32_e32 v7, 0xfffffc10, v4
	v_or_b32_e32 v3, v8, v3
	v_lshl_or_b32 v4, v7, 12, v5
	v_cmp_gt_i32_e32 vcc, 1, v7
	v_cndmask_b32_e32 v3, v4, v3, vcc
	v_and_b32_e32 v4, 7, v3
	v_cmp_lt_i32_e32 vcc, 5, v4
	v_cmp_eq_u32_e64 s[0:1], 3, v4
	v_lshrrev_b32_e32 v3, 2, v3
	s_or_b64 vcc, s[0:1], vcc
	v_addc_co_u32_e32 v8, vcc, 0, v3, vcc
	ds_read2_b32 v[3:4], v110 offset0:104 offset1:229
	v_cmp_gt_i32_e32 vcc, 31, v7
	v_cndmask_b32_e32 v8, v0, v8, vcc
	v_cmp_ne_u32_e32 vcc, 0, v5
	v_cndmask_b32_e64 v5, 0, 1, vcc
	s_waitcnt lgkmcnt(0)
	v_lshrrev_b32_e32 v10, 16, v3
	v_mul_f16_sdwa v11, v104, v10 dst_sel:DWORD dst_unused:UNUSED_PAD src0_sel:WORD_1 src1_sel:DWORD
	v_fma_f16 v11, v104, v3, v11
	v_cvt_f32_f16_e32 v11, v11
	v_lshl_or_b32 v5, v5, 9, v0
	v_cmp_eq_u32_e32 vcc, s10, v7
	v_cndmask_b32_e32 v5, v8, v5, vcc
	v_cvt_f64_f32_e32 v[7:8], v11
	v_lshrrev_b32_e32 v6, 16, v6
	v_and_or_b32 v11, v6, s11, v5
	v_add_co_u32_e32 v1, vcc, s5, v1
	v_mul_f64 v[5:6], v[7:8], s[2:3]
	v_mov_b32_e32 v8, s4
	v_and_b32_e32 v9, 0xffff, v9
	v_addc_co_u32_e32 v2, vcc, v2, v8, vcc
	v_lshl_or_b32 v7, v11, 16, v9
	global_store_dword v[1:2], v7, off
	v_mul_f16_sdwa v3, v104, v3 dst_sel:DWORD dst_unused:UNUSED_PAD src0_sel:WORD_1 src1_sel:DWORD
	v_and_or_b32 v5, v6, s6, v5
	v_cmp_ne_u32_e32 vcc, 0, v5
	v_cndmask_b32_e64 v5, 0, 1, vcc
	v_lshrrev_b32_e32 v7, 8, v6
	v_bfe_u32 v8, v6, 20, 11
	v_and_or_b32 v5, v7, s7, v5
	v_sub_u32_e32 v9, 0x3f1, v8
	v_or_b32_e32 v7, 0x1000, v5
	v_med3_i32 v9, v9, 0, 13
	v_lshrrev_b32_e32 v11, v9, v7
	v_lshlrev_b32_e32 v9, v9, v11
	v_cmp_ne_u32_e32 vcc, v9, v7
	v_fma_f16 v3, v104, v10, -v3
	v_cndmask_b32_e64 v7, 0, 1, vcc
	v_add_u32_e32 v9, 0xfffffc10, v8
	v_cvt_f32_f16_e32 v3, v3
	v_or_b32_e32 v7, v11, v7
	v_lshl_or_b32 v8, v9, 12, v5
	v_cmp_gt_i32_e32 vcc, 1, v9
	v_cndmask_b32_e32 v7, v8, v7, vcc
	v_and_b32_e32 v8, 7, v7
	v_cmp_lt_i32_e32 vcc, 5, v8
	v_cmp_eq_u32_e64 s[0:1], 3, v8
	v_lshrrev_b32_e32 v10, 2, v7
	v_cvt_f64_f32_e32 v[7:8], v3
	s_or_b64 vcc, s[0:1], vcc
	v_addc_co_u32_e32 v3, vcc, 0, v10, vcc
	v_mul_f64 v[7:8], v[7:8], s[2:3]
	v_cmp_gt_i32_e32 vcc, 31, v9
	v_cndmask_b32_e32 v3, v0, v3, vcc
	v_cmp_ne_u32_e32 vcc, 0, v5
	v_cndmask_b32_e64 v5, 0, 1, vcc
	v_lshl_or_b32 v5, v5, 9, v0
	v_cmp_eq_u32_e32 vcc, s10, v9
	v_cndmask_b32_e32 v3, v3, v5, vcc
	v_lshrrev_b32_e32 v5, 16, v6
	v_and_or_b32 v3, v5, s11, v3
	v_and_or_b32 v5, v8, s6, v7
	v_cmp_ne_u32_e32 vcc, 0, v5
	v_cndmask_b32_e64 v5, 0, 1, vcc
	v_lshrrev_b32_e32 v6, 8, v8
	v_and_or_b32 v7, v6, s7, v5
	v_bfe_u32 v6, v8, 20, 11
	v_sub_u32_e32 v9, 0x3f1, v6
	v_or_b32_e32 v5, 0x1000, v7
	v_med3_i32 v9, v9, 0, 13
	v_lshrrev_b32_e32 v10, v9, v5
	v_lshlrev_b32_e32 v9, v9, v10
	v_cmp_ne_u32_e32 vcc, v9, v5
	v_cndmask_b32_e64 v5, 0, 1, vcc
	v_add_u32_e32 v9, 0xfffffc10, v6
	v_or_b32_e32 v5, v10, v5
	v_lshl_or_b32 v6, v9, 12, v7
	v_cmp_gt_i32_e32 vcc, 1, v9
	v_cndmask_b32_e32 v5, v6, v5, vcc
	v_and_b32_e32 v6, 7, v5
	v_cmp_lt_i32_e32 vcc, 5, v6
	v_cmp_eq_u32_e64 s[0:1], 3, v6
	v_lshrrev_b32_e32 v5, 2, v5
	s_or_b64 vcc, s[0:1], vcc
	v_addc_co_u32_e32 v10, vcc, 0, v5, vcc
	ds_read2_b32 v[5:6], v109 offset0:74 offset1:199
	v_cmp_gt_i32_e32 vcc, 31, v9
	v_cndmask_b32_e32 v10, v0, v10, vcc
	v_cmp_ne_u32_e32 vcc, 0, v7
	v_cndmask_b32_e64 v7, 0, 1, vcc
	s_waitcnt lgkmcnt(0)
	v_lshrrev_b32_e32 v11, 16, v5
	v_mul_f16_sdwa v12, v102, v11 dst_sel:DWORD dst_unused:UNUSED_PAD src0_sel:WORD_1 src1_sel:DWORD
	v_fma_f16 v12, v102, v5, v12
	v_cvt_f32_f16_e32 v12, v12
	v_lshl_or_b32 v7, v7, 9, v0
	v_cmp_eq_u32_e32 vcc, s10, v9
	v_cndmask_b32_e32 v7, v10, v7, vcc
	v_cvt_f64_f32_e32 v[9:10], v12
	v_lshrrev_b32_e32 v8, 16, v8
	v_and_or_b32 v12, v8, s11, v7
	v_and_b32_e32 v3, 0xffff, v3
	v_mul_f64 v[7:8], v[9:10], s[2:3]
	v_mov_b32_e32 v9, s9
	v_add_co_u32_e32 v1, vcc, s8, v1
	v_lshl_or_b32 v3, v12, 16, v3
	v_addc_co_u32_e32 v2, vcc, v2, v9, vcc
	global_store_dword v[1:2], v3, off
	v_and_or_b32 v3, v8, s6, v7
	v_cmp_ne_u32_e32 vcc, 0, v3
	v_cndmask_b32_e64 v3, 0, 1, vcc
	v_lshrrev_b32_e32 v7, 8, v8
	v_bfe_u32 v9, v8, 20, 11
	v_and_or_b32 v3, v7, s7, v3
	v_sub_u32_e32 v10, 0x3f1, v9
	v_or_b32_e32 v7, 0x1000, v3
	v_med3_i32 v10, v10, 0, 13
	v_lshrrev_b32_e32 v12, v10, v7
	v_lshlrev_b32_e32 v10, v10, v12
	v_cmp_ne_u32_e32 vcc, v10, v7
	v_mul_f16_sdwa v5, v102, v5 dst_sel:DWORD dst_unused:UNUSED_PAD src0_sel:WORD_1 src1_sel:DWORD
	v_cndmask_b32_e64 v7, 0, 1, vcc
	v_fma_f16 v5, v102, v11, -v5
	v_or_b32_e32 v7, v12, v7
	v_add_u32_e32 v12, 0xfffffc10, v9
	v_cvt_f32_f16_e32 v5, v5
	v_lshl_or_b32 v9, v12, 12, v3
	v_cmp_gt_i32_e32 vcc, 1, v12
	v_cndmask_b32_e32 v7, v9, v7, vcc
	v_and_b32_e32 v9, 7, v7
	v_cmp_lt_i32_e32 vcc, 5, v9
	v_cmp_eq_u32_e64 s[0:1], 3, v9
	v_cvt_f64_f32_e32 v[9:10], v5
	v_lshrrev_b32_e32 v7, 2, v7
	s_or_b64 vcc, s[0:1], vcc
	v_addc_co_u32_e32 v5, vcc, 0, v7, vcc
	v_mul_f64 v[9:10], v[9:10], s[2:3]
	v_cmp_gt_i32_e32 vcc, 31, v12
	v_cndmask_b32_e32 v5, v0, v5, vcc
	v_cmp_ne_u32_e32 vcc, 0, v3
	v_cndmask_b32_e64 v3, 0, 1, vcc
	v_lshl_or_b32 v3, v3, 9, v0
	v_cmp_eq_u32_e32 vcc, s10, v12
	v_cndmask_b32_e32 v3, v5, v3, vcc
	v_lshrrev_b32_e32 v5, 16, v8
	v_and_or_b32 v3, v5, s11, v3
	v_and_or_b32 v5, v10, s6, v9
	v_cmp_ne_u32_e32 vcc, 0, v5
	v_cndmask_b32_e64 v5, 0, 1, vcc
	v_lshrrev_b32_e32 v7, 8, v10
	v_bfe_u32 v8, v10, 20, 11
	v_and_or_b32 v5, v7, s7, v5
	v_sub_u32_e32 v9, 0x3f1, v8
	v_or_b32_e32 v7, 0x1000, v5
	v_med3_i32 v9, v9, 0, 13
	v_lshrrev_b32_e32 v11, v9, v7
	v_lshlrev_b32_e32 v9, v9, v11
	v_cmp_ne_u32_e32 vcc, v9, v7
	v_cndmask_b32_e64 v7, 0, 1, vcc
	v_add_u32_e32 v9, 0xfffffc10, v8
	v_or_b32_e32 v7, v11, v7
	v_lshl_or_b32 v8, v9, 12, v5
	v_cmp_gt_i32_e32 vcc, 1, v9
	v_cndmask_b32_e32 v7, v8, v7, vcc
	v_and_b32_e32 v8, 7, v7
	v_cmp_lt_i32_e32 vcc, 5, v8
	v_cmp_eq_u32_e64 s[0:1], 3, v8
	v_lshrrev_b32_e32 v7, 2, v7
	s_or_b64 vcc, s[0:1], vcc
	v_addc_co_u32_e32 v11, vcc, 0, v7, vcc
	ds_read2_b32 v[7:8], v106 offset0:44 offset1:169
	v_cmp_gt_i32_e32 vcc, 31, v9
	v_cndmask_b32_e32 v11, v0, v11, vcc
	v_cmp_ne_u32_e32 vcc, 0, v5
	v_cndmask_b32_e64 v5, 0, 1, vcc
	s_waitcnt lgkmcnt(0)
	v_lshrrev_b32_e32 v13, 16, v7
	v_mul_f16_sdwa v12, v103, v13 dst_sel:DWORD dst_unused:UNUSED_PAD src0_sel:WORD_1 src1_sel:DWORD
	v_fma_f16 v12, v103, v7, v12
	v_cvt_f32_f16_e32 v12, v12
	v_lshl_or_b32 v5, v5, 9, v0
	v_cmp_eq_u32_e32 vcc, s10, v9
	v_cndmask_b32_e32 v5, v11, v5, vcc
	v_cvt_f64_f32_e32 v[11:12], v12
	v_lshrrev_b32_e32 v9, 16, v10
	v_and_or_b32 v5, v9, s11, v5
	v_and_b32_e32 v3, 0xffff, v3
	v_mul_f64 v[9:10], v[11:12], s[2:3]
	v_lshl_or_b32 v3, v5, 16, v3
	v_mov_b32_e32 v5, s4
	v_add_co_u32_e32 v1, vcc, s5, v1
	v_addc_co_u32_e32 v2, vcc, v2, v5, vcc
	global_store_dword v[1:2], v3, off
	v_and_or_b32 v3, v10, s6, v9
	v_cmp_ne_u32_e32 vcc, 0, v3
	v_cndmask_b32_e64 v3, 0, 1, vcc
	v_lshrrev_b32_e32 v5, 8, v10
	v_bfe_u32 v9, v10, 20, 11
	v_and_or_b32 v3, v5, s7, v3
	v_sub_u32_e32 v11, 0x3f1, v9
	v_or_b32_e32 v5, 0x1000, v3
	v_med3_i32 v11, v11, 0, 13
	v_lshrrev_b32_e32 v12, v11, v5
	v_lshlrev_b32_e32 v11, v11, v12
	v_mul_f16_sdwa v7, v103, v7 dst_sel:DWORD dst_unused:UNUSED_PAD src0_sel:WORD_1 src1_sel:DWORD
	v_cmp_ne_u32_e32 vcc, v11, v5
	v_fma_f16 v7, v103, v13, -v7
	v_cndmask_b32_e64 v5, 0, 1, vcc
	v_add_u32_e32 v9, 0xfffffc10, v9
	v_cvt_f32_f16_e32 v7, v7
	v_or_b32_e32 v5, v12, v5
	v_lshl_or_b32 v11, v9, 12, v3
	v_cmp_gt_i32_e32 vcc, 1, v9
	v_cndmask_b32_e32 v5, v11, v5, vcc
	v_and_b32_e32 v11, 7, v5
	v_cmp_lt_i32_e32 vcc, 5, v11
	v_cmp_eq_u32_e64 s[0:1], 3, v11
	v_cvt_f64_f32_e32 v[11:12], v7
	v_lshrrev_b32_e32 v5, 2, v5
	s_or_b64 vcc, s[0:1], vcc
	v_addc_co_u32_e32 v5, vcc, 0, v5, vcc
	v_mul_f64 v[11:12], v[11:12], s[2:3]
	v_cmp_gt_i32_e32 vcc, 31, v9
	v_cndmask_b32_e32 v5, v0, v5, vcc
	v_cmp_ne_u32_e32 vcc, 0, v3
	v_cndmask_b32_e64 v3, 0, 1, vcc
	v_lshl_or_b32 v3, v3, 9, v0
	v_cmp_eq_u32_e32 vcc, s10, v9
	v_cndmask_b32_e32 v3, v5, v3, vcc
	v_lshrrev_b32_e32 v5, 16, v10
	v_and_or_b32 v3, v5, s11, v3
	v_and_or_b32 v5, v12, s6, v11
	v_cmp_ne_u32_e32 vcc, 0, v5
	v_cndmask_b32_e64 v5, 0, 1, vcc
	v_lshrrev_b32_e32 v7, 8, v12
	v_bfe_u32 v9, v12, 20, 11
	v_and_or_b32 v5, v7, s7, v5
	v_sub_u32_e32 v10, 0x3f1, v9
	v_or_b32_e32 v7, 0x1000, v5
	v_med3_i32 v10, v10, 0, 13
	v_lshrrev_b32_e32 v11, v10, v7
	v_lshlrev_b32_e32 v10, v10, v11
	v_cmp_ne_u32_e32 vcc, v10, v7
	v_cndmask_b32_e64 v7, 0, 1, vcc
	v_add_u32_e32 v9, 0xfffffc10, v9
	v_or_b32_e32 v7, v11, v7
	v_lshl_or_b32 v10, v9, 12, v5
	v_cmp_gt_i32_e32 vcc, 1, v9
	v_cndmask_b32_e32 v7, v10, v7, vcc
	v_and_b32_e32 v10, 7, v7
	v_lshrrev_b32_e32 v11, 16, v4
	v_cmp_lt_i32_e32 vcc, 5, v10
	v_cmp_eq_u32_e64 s[0:1], 3, v10
	v_mul_f16_sdwa v10, v100, v11 dst_sel:DWORD dst_unused:UNUSED_PAD src0_sel:WORD_1 src1_sel:DWORD
	v_fma_f16 v10, v100, v4, v10
	v_lshrrev_b32_e32 v7, 2, v7
	s_or_b64 vcc, s[0:1], vcc
	v_cvt_f32_f16_e32 v10, v10
	v_addc_co_u32_e32 v7, vcc, 0, v7, vcc
	v_cmp_gt_i32_e32 vcc, 31, v9
	v_cndmask_b32_e32 v7, v0, v7, vcc
	v_cmp_ne_u32_e32 vcc, 0, v5
	v_cndmask_b32_e64 v5, 0, 1, vcc
	v_cmp_eq_u32_e32 vcc, s10, v9
	v_cvt_f64_f32_e32 v[9:10], v10
	v_lshl_or_b32 v5, v5, 9, v0
	v_cndmask_b32_e32 v5, v7, v5, vcc
	v_lshrrev_b32_e32 v7, 16, v12
	v_mul_f64 v[9:10], v[9:10], s[2:3]
	v_and_or_b32 v5, v7, s11, v5
	v_and_b32_e32 v3, 0xffff, v3
	v_lshl_or_b32 v3, v5, 16, v3
	v_mov_b32_e32 v5, s4
	v_add_co_u32_e32 v1, vcc, s5, v1
	v_addc_co_u32_e32 v2, vcc, v2, v5, vcc
	global_store_dword v[1:2], v3, off
	v_and_or_b32 v3, v10, s6, v9
	v_cmp_ne_u32_e32 vcc, 0, v3
	v_cndmask_b32_e64 v3, 0, 1, vcc
	v_lshrrev_b32_e32 v5, 8, v10
	v_bfe_u32 v7, v10, 20, 11
	v_and_or_b32 v5, v5, s7, v3
	v_sub_u32_e32 v9, 0x3f1, v7
	v_or_b32_e32 v3, 0x1000, v5
	v_med3_i32 v9, v9, 0, 13
	v_lshrrev_b32_e32 v12, v9, v3
	v_lshlrev_b32_e32 v9, v9, v12
	v_mul_f16_sdwa v4, v100, v4 dst_sel:DWORD dst_unused:UNUSED_PAD src0_sel:WORD_1 src1_sel:DWORD
	v_cmp_ne_u32_e32 vcc, v9, v3
	v_fma_f16 v4, v100, v11, -v4
	v_cndmask_b32_e64 v3, 0, 1, vcc
	v_add_u32_e32 v7, 0xfffffc10, v7
	v_cvt_f32_f16_e32 v4, v4
	v_or_b32_e32 v3, v12, v3
	v_lshl_or_b32 v9, v7, 12, v5
	v_cmp_gt_i32_e32 vcc, 1, v7
	v_cndmask_b32_e32 v3, v9, v3, vcc
	v_and_b32_e32 v9, 7, v3
	v_cmp_lt_i32_e32 vcc, 5, v9
	v_cmp_eq_u32_e64 s[0:1], 3, v9
	v_lshrrev_b32_e32 v9, 2, v3
	v_cvt_f64_f32_e32 v[3:4], v4
	s_or_b64 vcc, s[0:1], vcc
	v_addc_co_u32_e32 v9, vcc, 0, v9, vcc
	v_mul_f64 v[3:4], v[3:4], s[2:3]
	v_cmp_gt_i32_e32 vcc, 31, v7
	v_cndmask_b32_e32 v9, v0, v9, vcc
	v_cmp_ne_u32_e32 vcc, 0, v5
	v_cndmask_b32_e64 v5, 0, 1, vcc
	v_lshl_or_b32 v5, v5, 9, v0
	v_cmp_eq_u32_e32 vcc, s10, v7
	v_cndmask_b32_e32 v5, v9, v5, vcc
	v_and_or_b32 v3, v4, s6, v3
	v_lshrrev_b32_e32 v7, 16, v10
	v_cmp_ne_u32_e32 vcc, 0, v3
	v_and_or_b32 v5, v7, s11, v5
	v_cndmask_b32_e64 v3, 0, 1, vcc
	v_lshrrev_b32_e32 v7, 8, v4
	v_bfe_u32 v9, v4, 20, 11
	v_and_or_b32 v3, v7, s7, v3
	v_sub_u32_e32 v10, 0x3f1, v9
	v_or_b32_e32 v7, 0x1000, v3
	v_med3_i32 v10, v10, 0, 13
	v_lshrrev_b32_e32 v11, v10, v7
	v_lshlrev_b32_e32 v10, v10, v11
	v_cmp_ne_u32_e32 vcc, v10, v7
	v_cndmask_b32_e64 v7, 0, 1, vcc
	v_add_u32_e32 v9, 0xfffffc10, v9
	v_or_b32_e32 v7, v11, v7
	v_lshl_or_b32 v10, v9, 12, v3
	v_cmp_gt_i32_e32 vcc, 1, v9
	v_cndmask_b32_e32 v7, v10, v7, vcc
	v_and_b32_e32 v10, 7, v7
	v_lshrrev_b32_e32 v11, 16, v6
	v_cmp_lt_i32_e32 vcc, 5, v10
	v_cmp_eq_u32_e64 s[0:1], 3, v10
	v_mul_f16_sdwa v10, v99, v11 dst_sel:DWORD dst_unused:UNUSED_PAD src0_sel:WORD_1 src1_sel:DWORD
	v_fma_f16 v10, v99, v6, v10
	v_lshrrev_b32_e32 v7, 2, v7
	s_or_b64 vcc, s[0:1], vcc
	v_cvt_f32_f16_e32 v10, v10
	v_addc_co_u32_e32 v7, vcc, 0, v7, vcc
	v_cmp_gt_i32_e32 vcc, 31, v9
	v_cndmask_b32_e32 v7, v0, v7, vcc
	v_cmp_ne_u32_e32 vcc, 0, v3
	v_cndmask_b32_e64 v3, 0, 1, vcc
	v_cmp_eq_u32_e32 vcc, s10, v9
	v_cvt_f64_f32_e32 v[9:10], v10
	v_lshl_or_b32 v3, v3, 9, v0
	v_cndmask_b32_e32 v3, v7, v3, vcc
	v_lshrrev_b32_e32 v4, 16, v4
	v_and_or_b32 v7, v4, s11, v3
	v_mul_f64 v[3:4], v[9:10], s[2:3]
	v_and_b32_e32 v5, 0xffff, v5
	v_lshl_or_b32 v5, v7, 16, v5
	v_mov_b32_e32 v7, s9
	v_add_co_u32_e32 v1, vcc, s8, v1
	v_addc_co_u32_e32 v2, vcc, v2, v7, vcc
	v_and_or_b32 v3, v4, s6, v3
	v_cmp_ne_u32_e32 vcc, 0, v3
	global_store_dword v[1:2], v5, off
	v_cndmask_b32_e64 v3, 0, 1, vcc
	v_lshrrev_b32_e32 v5, 8, v4
	v_bfe_u32 v7, v4, 20, 11
	v_and_or_b32 v3, v5, s7, v3
	v_sub_u32_e32 v9, 0x3f1, v7
	v_or_b32_e32 v5, 0x1000, v3
	v_med3_i32 v9, v9, 0, 13
	v_lshrrev_b32_e32 v10, v9, v5
	v_lshlrev_b32_e32 v9, v9, v10
	v_mul_f16_sdwa v6, v99, v6 dst_sel:DWORD dst_unused:UNUSED_PAD src0_sel:WORD_1 src1_sel:DWORD
	v_cmp_ne_u32_e32 vcc, v9, v5
	v_fma_f16 v6, v99, v11, -v6
	v_cndmask_b32_e64 v5, 0, 1, vcc
	v_add_u32_e32 v7, 0xfffffc10, v7
	v_cvt_f32_f16_e32 v6, v6
	v_or_b32_e32 v5, v10, v5
	v_lshl_or_b32 v9, v7, 12, v3
	v_cmp_gt_i32_e32 vcc, 1, v7
	v_cndmask_b32_e32 v5, v9, v5, vcc
	v_and_b32_e32 v9, 7, v5
	v_cmp_lt_i32_e32 vcc, 5, v9
	v_cmp_eq_u32_e64 s[0:1], 3, v9
	v_lshrrev_b32_e32 v9, 2, v5
	v_cvt_f64_f32_e32 v[5:6], v6
	s_or_b64 vcc, s[0:1], vcc
	v_addc_co_u32_e32 v9, vcc, 0, v9, vcc
	v_mul_f64 v[5:6], v[5:6], s[2:3]
	v_cmp_gt_i32_e32 vcc, 31, v7
	v_cndmask_b32_e32 v9, v0, v9, vcc
	v_cmp_ne_u32_e32 vcc, 0, v3
	v_cndmask_b32_e64 v3, 0, 1, vcc
	v_lshl_or_b32 v3, v3, 9, v0
	v_cmp_eq_u32_e32 vcc, s10, v7
	v_cndmask_b32_e32 v3, v9, v3, vcc
	v_lshrrev_b32_e32 v4, 16, v4
	v_and_or_b32 v7, v4, s11, v3
	v_and_or_b32 v3, v6, s6, v5
	v_cmp_ne_u32_e32 vcc, 0, v3
	v_cndmask_b32_e64 v3, 0, 1, vcc
	v_lshrrev_b32_e32 v4, 8, v6
	v_bfe_u32 v5, v6, 20, 11
	v_and_or_b32 v3, v4, s7, v3
	v_sub_u32_e32 v9, 0x3f1, v5
	v_or_b32_e32 v4, 0x1000, v3
	v_med3_i32 v9, v9, 0, 13
	v_lshrrev_b32_e32 v10, v9, v4
	v_lshlrev_b32_e32 v9, v9, v10
	v_cmp_ne_u32_e32 vcc, v9, v4
	v_cndmask_b32_e64 v4, 0, 1, vcc
	v_add_u32_e32 v5, 0xfffffc10, v5
	v_or_b32_e32 v4, v10, v4
	v_lshl_or_b32 v9, v5, 12, v3
	v_cmp_gt_i32_e32 vcc, 1, v5
	v_cndmask_b32_e32 v4, v9, v4, vcc
	v_and_b32_e32 v9, 7, v4
	v_cmp_lt_i32_e32 vcc, 5, v9
	v_cmp_eq_u32_e64 s[0:1], 3, v9
	v_lshrrev_b32_e32 v9, 16, v8
	v_lshrrev_b32_e32 v4, 2, v4
	s_or_b64 vcc, s[0:1], vcc
	v_mul_f16_sdwa v10, v101, v9 dst_sel:DWORD dst_unused:UNUSED_PAD src0_sel:WORD_1 src1_sel:DWORD
	v_addc_co_u32_e32 v4, vcc, 0, v4, vcc
	v_fma_f16 v10, v101, v8, v10
	v_cmp_gt_i32_e32 vcc, 31, v5
	v_cvt_f32_f16_e32 v10, v10
	v_cndmask_b32_e32 v4, v0, v4, vcc
	v_cmp_ne_u32_e32 vcc, 0, v3
	v_cndmask_b32_e64 v3, 0, 1, vcc
	v_lshl_or_b32 v3, v3, 9, v0
	v_cmp_eq_u32_e32 vcc, s10, v5
	v_cndmask_b32_e32 v5, v4, v3, vcc
	v_cvt_f64_f32_e32 v[3:4], v10
	v_lshrrev_b32_e32 v6, 16, v6
	v_and_or_b32 v5, v6, s11, v5
	v_and_b32_e32 v6, 0xffff, v7
	v_mul_f64 v[3:4], v[3:4], s[2:3]
	v_lshl_or_b32 v5, v5, 16, v6
	v_mov_b32_e32 v6, s4
	v_add_co_u32_e32 v1, vcc, s5, v1
	v_addc_co_u32_e32 v2, vcc, v2, v6, vcc
	global_store_dword v[1:2], v5, off
	v_and_or_b32 v3, v4, s6, v3
	v_cmp_ne_u32_e32 vcc, 0, v3
	v_cndmask_b32_e64 v3, 0, 1, vcc
	v_lshrrev_b32_e32 v5, 8, v4
	v_bfe_u32 v6, v4, 20, 11
	v_and_or_b32 v3, v5, s7, v3
	v_sub_u32_e32 v7, 0x3f1, v6
	v_or_b32_e32 v5, 0x1000, v3
	v_med3_i32 v7, v7, 0, 13
	v_lshrrev_b32_e32 v10, v7, v5
	v_lshlrev_b32_e32 v7, v7, v10
	v_mul_f16_sdwa v8, v101, v8 dst_sel:DWORD dst_unused:UNUSED_PAD src0_sel:WORD_1 src1_sel:DWORD
	v_cmp_ne_u32_e32 vcc, v7, v5
	v_fma_f16 v8, v101, v9, -v8
	v_cndmask_b32_e64 v5, 0, 1, vcc
	v_add_u32_e32 v7, 0xfffffc10, v6
	v_cvt_f32_f16_e32 v8, v8
	v_or_b32_e32 v5, v10, v5
	v_lshl_or_b32 v6, v7, 12, v3
	v_cmp_gt_i32_e32 vcc, 1, v7
	v_cndmask_b32_e32 v5, v6, v5, vcc
	v_and_b32_e32 v6, 7, v5
	v_cmp_lt_i32_e32 vcc, 5, v6
	v_cmp_eq_u32_e64 s[0:1], 3, v6
	v_lshrrev_b32_e32 v9, 2, v5
	v_cvt_f64_f32_e32 v[5:6], v8
	s_or_b64 vcc, s[0:1], vcc
	v_addc_co_u32_e32 v8, vcc, 0, v9, vcc
	v_mul_f64 v[5:6], v[5:6], s[2:3]
	v_cmp_gt_i32_e32 vcc, 31, v7
	v_cndmask_b32_e32 v8, v0, v8, vcc
	v_cmp_ne_u32_e32 vcc, 0, v3
	v_cndmask_b32_e64 v3, 0, 1, vcc
	v_lshl_or_b32 v3, v3, 9, v0
	v_cmp_eq_u32_e32 vcc, s10, v7
	v_cndmask_b32_e32 v3, v8, v3, vcc
	v_lshrrev_b32_e32 v4, 16, v4
	v_and_or_b32 v3, v4, s11, v3
	v_and_or_b32 v4, v6, s6, v5
	v_cmp_ne_u32_e32 vcc, 0, v4
	v_cndmask_b32_e64 v4, 0, 1, vcc
	v_lshrrev_b32_e32 v5, 8, v6
	v_bfe_u32 v7, v6, 20, 11
	v_and_or_b32 v4, v5, s7, v4
	v_sub_u32_e32 v8, 0x3f1, v7
	v_or_b32_e32 v5, 0x1000, v4
	v_med3_i32 v8, v8, 0, 13
	v_lshrrev_b32_e32 v9, v8, v5
	v_lshlrev_b32_e32 v8, v8, v9
	v_cmp_ne_u32_e32 vcc, v8, v5
	v_cndmask_b32_e64 v5, 0, 1, vcc
	v_add_u32_e32 v7, 0xfffffc10, v7
	v_or_b32_e32 v5, v9, v5
	v_lshl_or_b32 v8, v7, 12, v4
	v_cmp_gt_i32_e32 vcc, 1, v7
	v_cndmask_b32_e32 v5, v8, v5, vcc
	v_and_b32_e32 v8, 7, v5
	v_cmp_lt_i32_e32 vcc, 5, v8
	v_cmp_eq_u32_e64 s[0:1], 3, v8
	v_lshrrev_b32_e32 v5, 2, v5
	s_or_b64 vcc, s[0:1], vcc
	v_addc_co_u32_e32 v5, vcc, 0, v5, vcc
	v_cmp_gt_i32_e32 vcc, 31, v7
	v_cndmask_b32_e32 v5, v0, v5, vcc
	v_cmp_ne_u32_e32 vcc, 0, v4
	v_cndmask_b32_e64 v4, 0, 1, vcc
	v_lshl_or_b32 v0, v4, 9, v0
	v_cmp_eq_u32_e32 vcc, s10, v7
	v_cndmask_b32_e32 v0, v5, v0, vcc
	v_lshrrev_b32_e32 v4, 16, v6
	v_and_or_b32 v0, v4, s11, v0
	v_and_b32_e32 v3, 0xffff, v3
	v_lshl_or_b32 v3, v0, 16, v3
	v_mov_b32_e32 v4, s4
	v_add_co_u32_e32 v0, vcc, s5, v1
	v_addc_co_u32_e32 v1, vcc, v2, v4, vcc
	global_store_dword v[0:1], v3, off
.LBB0_2:
	s_endpgm
	.section	.rodata,"a",@progbits
	.p2align	6, 0x0
	.amdhsa_kernel bluestein_single_back_len3750_dim1_half_op_CI_CI
		.amdhsa_group_segment_fixed_size 15000
		.amdhsa_private_segment_fixed_size 0
		.amdhsa_kernarg_size 104
		.amdhsa_user_sgpr_count 6
		.amdhsa_user_sgpr_private_segment_buffer 1
		.amdhsa_user_sgpr_dispatch_ptr 0
		.amdhsa_user_sgpr_queue_ptr 0
		.amdhsa_user_sgpr_kernarg_segment_ptr 1
		.amdhsa_user_sgpr_dispatch_id 0
		.amdhsa_user_sgpr_flat_scratch_init 0
		.amdhsa_user_sgpr_private_segment_size 0
		.amdhsa_uses_dynamic_stack 0
		.amdhsa_system_sgpr_private_segment_wavefront_offset 0
		.amdhsa_system_sgpr_workgroup_id_x 1
		.amdhsa_system_sgpr_workgroup_id_y 0
		.amdhsa_system_sgpr_workgroup_id_z 0
		.amdhsa_system_sgpr_workgroup_info 0
		.amdhsa_system_vgpr_workitem_id 0
		.amdhsa_next_free_vgpr 240
		.amdhsa_next_free_sgpr 20
		.amdhsa_reserve_vcc 1
		.amdhsa_reserve_flat_scratch 0
		.amdhsa_float_round_mode_32 0
		.amdhsa_float_round_mode_16_64 0
		.amdhsa_float_denorm_mode_32 3
		.amdhsa_float_denorm_mode_16_64 3
		.amdhsa_dx10_clamp 1
		.amdhsa_ieee_mode 1
		.amdhsa_fp16_overflow 0
		.amdhsa_exception_fp_ieee_invalid_op 0
		.amdhsa_exception_fp_denorm_src 0
		.amdhsa_exception_fp_ieee_div_zero 0
		.amdhsa_exception_fp_ieee_overflow 0
		.amdhsa_exception_fp_ieee_underflow 0
		.amdhsa_exception_fp_ieee_inexact 0
		.amdhsa_exception_int_div_zero 0
	.end_amdhsa_kernel
	.text
.Lfunc_end0:
	.size	bluestein_single_back_len3750_dim1_half_op_CI_CI, .Lfunc_end0-bluestein_single_back_len3750_dim1_half_op_CI_CI
                                        ; -- End function
	.section	.AMDGPU.csdata,"",@progbits
; Kernel info:
; codeLenInByte = 52828
; NumSgprs: 24
; NumVgprs: 240
; ScratchSize: 0
; MemoryBound: 0
; FloatMode: 240
; IeeeMode: 1
; LDSByteSize: 15000 bytes/workgroup (compile time only)
; SGPRBlocks: 2
; VGPRBlocks: 59
; NumSGPRsForWavesPerEU: 24
; NumVGPRsForWavesPerEU: 240
; Occupancy: 1
; WaveLimiterHint : 1
; COMPUTE_PGM_RSRC2:SCRATCH_EN: 0
; COMPUTE_PGM_RSRC2:USER_SGPR: 6
; COMPUTE_PGM_RSRC2:TRAP_HANDLER: 0
; COMPUTE_PGM_RSRC2:TGID_X_EN: 1
; COMPUTE_PGM_RSRC2:TGID_Y_EN: 0
; COMPUTE_PGM_RSRC2:TGID_Z_EN: 0
; COMPUTE_PGM_RSRC2:TIDIG_COMP_CNT: 0
	.type	__hip_cuid_f7b21e6489a62d7f,@object ; @__hip_cuid_f7b21e6489a62d7f
	.section	.bss,"aw",@nobits
	.globl	__hip_cuid_f7b21e6489a62d7f
__hip_cuid_f7b21e6489a62d7f:
	.byte	0                               ; 0x0
	.size	__hip_cuid_f7b21e6489a62d7f, 1

	.ident	"AMD clang version 19.0.0git (https://github.com/RadeonOpenCompute/llvm-project roc-6.4.0 25133 c7fe45cf4b819c5991fe208aaa96edf142730f1d)"
	.section	".note.GNU-stack","",@progbits
	.addrsig
	.addrsig_sym __hip_cuid_f7b21e6489a62d7f
	.amdgpu_metadata
---
amdhsa.kernels:
  - .args:
      - .actual_access:  read_only
        .address_space:  global
        .offset:         0
        .size:           8
        .value_kind:     global_buffer
      - .actual_access:  read_only
        .address_space:  global
        .offset:         8
        .size:           8
        .value_kind:     global_buffer
      - .actual_access:  read_only
        .address_space:  global
        .offset:         16
        .size:           8
        .value_kind:     global_buffer
      - .actual_access:  read_only
        .address_space:  global
        .offset:         24
        .size:           8
        .value_kind:     global_buffer
      - .actual_access:  read_only
        .address_space:  global
        .offset:         32
        .size:           8
        .value_kind:     global_buffer
      - .offset:         40
        .size:           8
        .value_kind:     by_value
      - .address_space:  global
        .offset:         48
        .size:           8
        .value_kind:     global_buffer
      - .address_space:  global
        .offset:         56
        .size:           8
        .value_kind:     global_buffer
      - .address_space:  global
        .offset:         64
        .size:           8
        .value_kind:     global_buffer
      - .address_space:  global
        .offset:         72
        .size:           8
        .value_kind:     global_buffer
      - .offset:         80
        .size:           4
        .value_kind:     by_value
      - .address_space:  global
        .offset:         88
        .size:           8
        .value_kind:     global_buffer
      - .address_space:  global
        .offset:         96
        .size:           8
        .value_kind:     global_buffer
    .group_segment_fixed_size: 15000
    .kernarg_segment_align: 8
    .kernarg_segment_size: 104
    .language:       OpenCL C
    .language_version:
      - 2
      - 0
    .max_flat_workgroup_size: 125
    .name:           bluestein_single_back_len3750_dim1_half_op_CI_CI
    .private_segment_fixed_size: 0
    .sgpr_count:     24
    .sgpr_spill_count: 0
    .symbol:         bluestein_single_back_len3750_dim1_half_op_CI_CI.kd
    .uniform_work_group_size: 1
    .uses_dynamic_stack: false
    .vgpr_count:     240
    .vgpr_spill_count: 0
    .wavefront_size: 64
amdhsa.target:   amdgcn-amd-amdhsa--gfx906
amdhsa.version:
  - 1
  - 2
...

	.end_amdgpu_metadata
